;; amdgpu-corpus repo=ROCm/rocSPARSE kind=compiled arch=gfx90a opt=O3
	.text
	.amdgcn_target "amdgcn-amd-amdhsa--gfx90a"
	.amdhsa_code_object_version 6
	.section	.text._ZN9rocsparseL12csrsv_kernelILj1024ELj64ELb1EiifEEvT3_NS_24const_host_device_scalarIT4_EEPKT2_PKS1_PKS3_SB_lPS3_PiS9_iPS1_21rocsparse_index_base_20rocsparse_fill_mode_20rocsparse_diag_type_b,"axG",@progbits,_ZN9rocsparseL12csrsv_kernelILj1024ELj64ELb1EiifEEvT3_NS_24const_host_device_scalarIT4_EEPKT2_PKS1_PKS3_SB_lPS3_PiS9_iPS1_21rocsparse_index_base_20rocsparse_fill_mode_20rocsparse_diag_type_b,comdat
	.globl	_ZN9rocsparseL12csrsv_kernelILj1024ELj64ELb1EiifEEvT3_NS_24const_host_device_scalarIT4_EEPKT2_PKS1_PKS3_SB_lPS3_PiS9_iPS1_21rocsparse_index_base_20rocsparse_fill_mode_20rocsparse_diag_type_b ; -- Begin function _ZN9rocsparseL12csrsv_kernelILj1024ELj64ELb1EiifEEvT3_NS_24const_host_device_scalarIT4_EEPKT2_PKS1_PKS3_SB_lPS3_PiS9_iPS1_21rocsparse_index_base_20rocsparse_fill_mode_20rocsparse_diag_type_b
	.p2align	8
	.type	_ZN9rocsparseL12csrsv_kernelILj1024ELj64ELb1EiifEEvT3_NS_24const_host_device_scalarIT4_EEPKT2_PKS1_PKS3_SB_lPS3_PiS9_iPS1_21rocsparse_index_base_20rocsparse_fill_mode_20rocsparse_diag_type_b,@function
_ZN9rocsparseL12csrsv_kernelILj1024ELj64ELb1EiifEEvT3_NS_24const_host_device_scalarIT4_EEPKT2_PKS1_PKS3_SB_lPS3_PiS9_iPS1_21rocsparse_index_base_20rocsparse_fill_mode_20rocsparse_diag_type_b: ; @_ZN9rocsparseL12csrsv_kernelILj1024ELj64ELb1EiifEEvT3_NS_24const_host_device_scalarIT4_EEPKT2_PKS1_PKS3_SB_lPS3_PiS9_iPS1_21rocsparse_index_base_20rocsparse_fill_mode_20rocsparse_diag_type_b
; %bb.0:
	s_load_dwordx4 s[8:11], s[4:5], 0x60
	s_load_dwordx2 s[0:1], s[4:5], 0x8
	s_waitcnt lgkmcnt(0)
	s_bitcmp1_b32 s11, 0
	s_cselect_b64 s[2:3], -1, 0
	s_and_b64 vcc, exec, s[2:3]
	s_cbranch_vccnz .LBB0_2
; %bb.1:
	s_load_dword s0, s[0:1], 0x0
.LBB0_2:
	s_nop 0
	s_load_dword s2, s[4:5], 0x0
	v_lshrrev_b32_e32 v1, 6, v0
	v_readfirstlane_b32 s11, v1
	s_lshl_b32 s1, s6, 4
	s_add_i32 s1, s11, s1
	s_waitcnt lgkmcnt(0)
	s_cmp_ge_i32 s1, s2
	s_cbranch_scc1 .LBB0_48
; %bb.3:
	s_load_dword s6, s[4:5], 0x50
	s_load_dwordx2 s[2:3], s[4:5], 0x48
	v_and_b32_e32 v6, 63, v0
	v_cmp_eq_u32_e32 vcc, 0, v6
	v_mov_b32_e32 v10, 0
	s_waitcnt lgkmcnt(0)
	s_add_i32 s6, s1, s6
	s_ashr_i32 s7, s6, 31
	s_lshl_b64 s[6:7], s[6:7], 2
	s_add_u32 s2, s2, s6
	s_addc_u32 s3, s3, s7
	s_load_dword s20, s[2:3], 0x0
	s_load_dwordx2 s[16:17], s[4:5], 0x10
	s_load_dwordx4 s[12:15], s[4:5], 0x38
	s_waitcnt lgkmcnt(0)
	s_ashr_i32 s21, s20, 31
	s_lshl_b64 s[6:7], s[20:21], 2
	s_add_u32 s2, s16, s6
	s_addc_u32 s3, s17, s7
	s_load_dwordx2 s[2:3], s[2:3], 0x0
	s_and_saveexec_b64 s[16:17], vcc
	s_cbranch_execz .LBB0_5
; %bb.4:
	s_load_dwordx4 s[24:27], s[4:5], 0x28
	s_waitcnt lgkmcnt(0)
	s_mul_i32 s1, s20, s27
	s_mul_hi_u32 s18, s20, s26
	s_mul_i32 s19, s21, s26
	s_add_i32 s1, s18, s1
	s_add_i32 s19, s1, s19
	s_mul_i32 s18, s20, s26
	s_lshl_b64 s[18:19], s[18:19], 2
	s_add_u32 s18, s24, s18
	s_addc_u32 s19, s25, s19
	s_load_dword s1, s[18:19], 0x0
	s_waitcnt lgkmcnt(0)
	v_mov_b32_e32 v0, s1
	v_mul_f32_e32 v10, s0, v0
.LBB0_5:
	s_or_b64 exec, exec, s[16:17]
	v_subrev_u32_e32 v0, s8, v6
	s_waitcnt lgkmcnt(0)
	s_sub_i32 s21, s3, s8
	v_add_u32_e32 v0, s2, v0
	v_cmp_gt_i32_e32 vcc, s21, v0
	s_and_saveexec_b64 s[22:23], vcc
	s_cbranch_execz .LBB0_45
; %bb.6:
	s_load_dwordx2 s[24:25], s[4:5], 0x58
	s_load_dwordx4 s[16:19], s[4:5], 0x18
	s_cmp_eq_u32 s10, 0
	s_cselect_b64 s[26:27], -1, 0
	v_cndmask_b32_e64 v1, 0, 1, s[26:27]
	s_add_i32 s33, s20, s8
	s_lshl_b32 s38, s11, 2
	s_mov_b64 s[28:29], 0
	s_waitcnt lgkmcnt(0)
	v_mov_b32_e32 v7, s17
	v_mov_b32_e32 v8, s19
	;; [unrolled: 1-line block ×3, first 2 shown]
	v_cmp_ne_u32_e64 s[0:1], 1, v1
	s_branch .LBB0_8
.LBB0_7:                                ;   in Loop: Header=BB0_8 Depth=1
	s_or_b64 exec, exec, s[30:31]
	s_and_b64 s[2:3], exec, s[2:3]
	s_or_b64 s[28:29], s[2:3], s[28:29]
	v_mov_b32_e32 v10, v3
	s_andn2_b64 exec, exec, s[28:29]
	s_cbranch_execz .LBB0_44
.LBB0_8:                                ; =>This Loop Header: Depth=1
                                        ;     Child Loop BB0_34 Depth 2
                                        ;       Child Loop BB0_35 Depth 3
	v_ashrrev_i32_e32 v1, 31, v0
	v_lshlrev_b64 v[2:3], 2, v[0:1]
	v_add_co_u32_e32 v4, vcc, s16, v2
	v_addc_co_u32_e32 v5, vcc, v7, v3, vcc
	global_load_dword v4, v[4:5], off glc slc
	v_add_co_u32_e32 v2, vcc, s18, v2
	v_addc_co_u32_e32 v3, vcc, v8, v3, vcc
	global_load_dword v1, v[2:3], off glc slc
	s_waitcnt vmcnt(1)
	v_subrev_u32_e32 v2, s8, v4
	v_cmp_eq_u32_e32 vcc, s20, v2
	s_and_b64 s[4:5], s[26:27], vcc
	s_waitcnt vmcnt(0)
	v_cmp_eq_f32_e64 s[2:3], 0, v1
	s_and_b64 s[2:3], s[2:3], s[4:5]
	s_and_saveexec_b64 s[4:5], s[2:3]
	s_cbranch_execz .LBB0_12
; %bb.9:                                ;   in Loop: Header=BB0_8 Depth=1
	v_mbcnt_lo_u32_b32 v1, exec_lo, 0
	v_mbcnt_hi_u32_b32 v1, exec_hi, v1
	v_cmp_eq_u32_e64 s[2:3], 0, v1
	s_and_saveexec_b64 s[30:31], s[2:3]
	s_cbranch_execz .LBB0_11
; %bb.10:                               ;   in Loop: Header=BB0_8 Depth=1
	v_mov_b32_e32 v1, s33
	global_atomic_smin v9, v1, s[24:25]
.LBB0_11:                               ;   in Loop: Header=BB0_8 Depth=1
	s_or_b64 exec, exec, s[30:31]
	v_mov_b32_e32 v1, 1.0
.LBB0_12:                               ;   in Loop: Header=BB0_8 Depth=1
	s_or_b64 exec, exec, s[4:5]
	v_cmp_ne_u32_e64 s[2:3], s20, v2
	s_cmp_lt_i32 s9, 1
	s_mov_b64 s[30:31], 0
	s_cbranch_scc1 .LBB0_21
; %bb.13:                               ;   in Loop: Header=BB0_8 Depth=1
	s_cmp_eq_u32 s9, 1
	s_cbranch_scc0 .LBB0_22
; %bb.14:                               ;   in Loop: Header=BB0_8 Depth=1
	v_cmp_le_i32_e64 s[4:5], s20, v2
	s_mov_b64 s[34:35], 0
	s_and_saveexec_b64 s[36:37], s[4:5]
	s_cbranch_execz .LBB0_20
; %bb.15:                               ;   in Loop: Header=BB0_8 Depth=1
	s_mov_b64 s[34:35], -1
	s_and_saveexec_b64 s[4:5], vcc
	s_xor_b64 s[4:5], exec, s[4:5]
	s_cbranch_execz .LBB0_19
; %bb.16:                               ;   in Loop: Header=BB0_8 Depth=1
	s_and_b64 vcc, exec, s[0:1]
	s_cbranch_vccnz .LBB0_18
; %bb.17:                               ;   in Loop: Header=BB0_8 Depth=1
	v_div_scale_f32 v3, s[34:35], v1, v1, 1.0
	v_rcp_f32_e32 v4, v3
	v_div_scale_f32 v5, vcc, 1.0, v1, 1.0
	v_fma_f32 v11, -v3, v4, 1.0
	v_fmac_f32_e32 v4, v11, v4
	v_mul_f32_e32 v11, v5, v4
	v_fma_f32 v12, -v3, v11, v5
	v_fmac_f32_e32 v11, v12, v4
	v_fma_f32 v3, -v3, v11, v5
	v_div_fmas_f32 v3, v3, v4, v11
	v_div_fixup_f32 v3, v3, v1, 1.0
	v_mov_b32_e32 v4, s38
	ds_write_b32 v4, v3
.LBB0_18:                               ;   in Loop: Header=BB0_8 Depth=1
	s_xor_b64 s[34:35], exec, -1
.LBB0_19:                               ;   in Loop: Header=BB0_8 Depth=1
	s_or_b64 exec, exec, s[4:5]
	s_and_b64 s[34:35], s[34:35], exec
.LBB0_20:                               ;   in Loop: Header=BB0_8 Depth=1
	s_or_b64 exec, exec, s[36:37]
	s_mov_b32 s17, 4
	v_mov_b32_e32 v3, v10
	s_branch .LBB0_23
.LBB0_21:                               ;   in Loop: Header=BB0_8 Depth=1
	s_mov_b64 s[34:35], 0
                                        ; implicit-def: $sgpr17
                                        ; implicit-def: $vgpr3
	s_cbranch_execnz .LBB0_24
	s_branch .LBB0_26
.LBB0_22:                               ;   in Loop: Header=BB0_8 Depth=1
	s_mov_b64 s[34:35], -1
                                        ; implicit-def: $sgpr17
                                        ; implicit-def: $vgpr3
.LBB0_23:                               ;   in Loop: Header=BB0_8 Depth=1
	s_branch .LBB0_26
.LBB0_24:                               ;   in Loop: Header=BB0_8 Depth=1
	s_cmp_eq_u32 s9, 0
	s_cbranch_scc1 .LBB0_28
; %bb.25:                               ;   in Loop: Header=BB0_8 Depth=1
	s_mov_b64 s[34:35], -1
                                        ; implicit-def: $sgpr17
                                        ; implicit-def: $vgpr3
.LBB0_26:                               ;   in Loop: Header=BB0_8 Depth=1
	v_mov_b32_e32 v4, s17
	s_and_saveexec_b64 s[2:3], s[34:35]
	s_cbranch_execnz .LBB0_31
.LBB0_27:                               ;   in Loop: Header=BB0_8 Depth=1
	s_or_b64 exec, exec, s[2:3]
	s_and_saveexec_b64 s[2:3], s[30:31]
	s_cbranch_execnz .LBB0_37
	s_branch .LBB0_40
.LBB0_28:                               ;   in Loop: Header=BB0_8 Depth=1
	v_cmp_ge_i32_e32 vcc, s20, v2
	s_mov_b64 s[34:35], 0
	s_and_saveexec_b64 s[4:5], vcc
; %bb.29:                               ;   in Loop: Header=BB0_8 Depth=1
	s_mov_b64 s[30:31], exec
	s_and_b64 s[34:35], s[2:3], exec
; %bb.30:                               ;   in Loop: Header=BB0_8 Depth=1
	s_or_b64 exec, exec, s[4:5]
	s_mov_b32 s17, 2
	v_mov_b32_e32 v3, v10
	v_mov_b32_e32 v4, s17
	s_and_saveexec_b64 s[2:3], s[34:35]
	s_cbranch_execz .LBB0_27
.LBB0_31:                               ;   in Loop: Header=BB0_8 Depth=1
	v_ashrrev_i32_e32 v3, 31, v2
	v_lshlrev_b64 v[2:3], 2, v[2:3]
	v_mov_b32_e32 v5, s15
	v_add_co_u32_e32 v4, vcc, s14, v2
	v_addc_co_u32_e32 v5, vcc, v5, v3, vcc
	global_load_dword v11, v[4:5], off glc
	s_waitcnt vmcnt(0)
	v_cmp_eq_u32_e32 vcc, 0, v11
	s_and_saveexec_b64 s[4:5], vcc
	s_cbranch_execz .LBB0_36
; %bb.32:                               ;   in Loop: Header=BB0_8 Depth=1
	s_mov_b32 s17, 0
	s_mov_b64 s[34:35], 0
	s_branch .LBB0_34
.LBB0_33:                               ;   in Loop: Header=BB0_34 Depth=2
	global_load_dword v11, v[4:5], off glc
	s_cmpk_lt_u32 s17, 0xf43
	s_cselect_b64 s[36:37], -1, 0
	s_cmp_lg_u64 s[36:37], 0
	s_addc_u32 s17, s17, 0
	s_waitcnt vmcnt(0)
	v_cmp_ne_u32_e32 vcc, 0, v11
	s_or_b64 s[34:35], vcc, s[34:35]
	s_andn2_b64 exec, exec, s[34:35]
	s_cbranch_execz .LBB0_36
.LBB0_34:                               ;   Parent Loop BB0_8 Depth=1
                                        ; =>  This Loop Header: Depth=2
                                        ;       Child Loop BB0_35 Depth 3
	s_cmp_eq_u32 s17, 0
	s_mov_b32 s19, s17
	s_cbranch_scc1 .LBB0_33
.LBB0_35:                               ;   Parent Loop BB0_8 Depth=1
                                        ;     Parent Loop BB0_34 Depth=2
                                        ; =>    This Inner Loop Header: Depth=3
	s_add_i32 s19, s19, -1
	s_cmp_eq_u32 s19, 0
	s_sleep 1
	s_cbranch_scc0 .LBB0_35
	s_branch .LBB0_33
.LBB0_36:                               ;   in Loop: Header=BB0_8 Depth=1
	s_or_b64 exec, exec, s[4:5]
	v_mov_b32_e32 v4, s13
	v_add_co_u32_e32 v2, vcc, s12, v2
	v_addc_co_u32_e32 v3, vcc, v4, v3, vcc
	s_waitcnt lgkmcnt(0)
	buffer_wbinvl1_vol
	global_load_dword v2, v[2:3], off
	v_mov_b32_e32 v4, 0
	s_andn2_b64 s[30:31], s[30:31], exec
	s_waitcnt vmcnt(0)
	v_fma_f32 v3, -v1, v2, v10
	s_or_b64 exec, exec, s[2:3]
	s_and_saveexec_b64 s[2:3], s[30:31]
	s_cbranch_execz .LBB0_40
.LBB0_37:                               ;   in Loop: Header=BB0_8 Depth=1
	s_and_b64 vcc, exec, s[0:1]
	s_cbranch_vccnz .LBB0_39
; %bb.38:                               ;   in Loop: Header=BB0_8 Depth=1
	v_div_scale_f32 v2, s[4:5], v1, v1, 1.0
	v_rcp_f32_e32 v3, v2
	v_div_scale_f32 v4, vcc, 1.0, v1, 1.0
	v_fma_f32 v5, -v2, v3, 1.0
	v_fmac_f32_e32 v3, v5, v3
	v_mul_f32_e32 v5, v4, v3
	v_fma_f32 v11, -v2, v5, v4
	v_fmac_f32_e32 v5, v11, v3
	v_fma_f32 v2, -v2, v5, v4
	v_div_fmas_f32 v2, v2, v3, v5
	v_div_fixup_f32 v1, v2, v1, 1.0
	v_mov_b32_e32 v2, s38
	ds_write_b32 v2, v1
.LBB0_39:                               ;   in Loop: Header=BB0_8 Depth=1
	v_mov_b32_e32 v4, 2
	v_mov_b32_e32 v3, v10
.LBB0_40:                               ;   in Loop: Header=BB0_8 Depth=1
	s_or_b64 exec, exec, s[2:3]
	v_cmp_gt_i32_e32 vcc, 4, v4
	s_mov_b64 s[2:3], -1
	s_mov_b64 s[4:5], -1
	s_and_saveexec_b64 s[30:31], vcc
; %bb.41:                               ;   in Loop: Header=BB0_8 Depth=1
	v_cmp_eq_u32_e32 vcc, 0, v4
	s_orn2_b64 s[4:5], vcc, exec
; %bb.42:                               ;   in Loop: Header=BB0_8 Depth=1
	s_or_b64 exec, exec, s[30:31]
	s_and_saveexec_b64 s[30:31], s[4:5]
	s_cbranch_execz .LBB0_7
; %bb.43:                               ;   in Loop: Header=BB0_8 Depth=1
	v_add_u32_e32 v0, 64, v0
	v_cmp_le_i32_e32 vcc, s21, v0
	s_orn2_b64 s[2:3], vcc, exec
	s_branch .LBB0_7
.LBB0_44:
	s_or_b64 exec, exec, s[28:29]
	v_mov_b32_e32 v10, v3
.LBB0_45:
	s_or_b64 exec, exec, s[22:23]
	s_nop 0
	v_mov_b32_dpp v0, v10 row_shr:1 row_mask:0xf bank_mask:0xf
	v_add_f32_e32 v0, v10, v0
	s_cmp_lg_u32 s10, 0
	s_nop 0
	v_mov_b32_dpp v1, v0 row_shr:2 row_mask:0xf bank_mask:0xf
	v_add_f32_e32 v0, v0, v1
	s_nop 1
	v_mov_b32_dpp v1, v0 row_shr:4 row_mask:0xf bank_mask:0xe
	v_add_f32_e32 v0, v0, v1
	;; [unrolled: 3-line block ×3, first 2 shown]
	s_nop 1
	v_mov_b32_dpp v1, v0 row_bcast:15 row_mask:0xa bank_mask:0xf
	v_add_f32_e32 v0, v0, v1
	s_nop 1
	v_mov_b32_dpp v1, v0 row_bcast:31 row_mask:0xc bank_mask:0xf
	v_add_f32_e32 v0, v0, v1
	s_cbranch_scc0 .LBB0_49
; %bb.46:
	v_cmp_eq_u32_e32 vcc, 63, v6
	s_and_saveexec_b64 s[0:1], vcc
	s_cbranch_execz .LBB0_48
.LBB0_47:
	s_add_u32 s0, s12, s6
	s_addc_u32 s1, s13, s7
	v_mov_b32_e32 v1, 0
	s_add_u32 s2, s14, s6
	s_addc_u32 s3, s15, s7
	global_store_dword v1, v0, s[0:1] glc slc
	v_mov_b32_e32 v0, 1
	s_waitcnt vmcnt(0)
	global_store_dword v1, v0, s[2:3]
.LBB0_48:
	s_endpgm
.LBB0_49:
	s_lshl_b32 s0, s11, 2
	v_mov_b32_e32 v1, s0
	s_waitcnt lgkmcnt(0)
	ds_read_b32 v1, v1
	s_waitcnt lgkmcnt(0)
	v_mul_f32_e32 v0, v0, v1
	v_cmp_eq_u32_e32 vcc, 63, v6
	s_and_saveexec_b64 s[0:1], vcc
	s_cbranch_execnz .LBB0_47
	s_branch .LBB0_48
	.section	.rodata,"a",@progbits
	.p2align	6, 0x0
	.amdhsa_kernel _ZN9rocsparseL12csrsv_kernelILj1024ELj64ELb1EiifEEvT3_NS_24const_host_device_scalarIT4_EEPKT2_PKS1_PKS3_SB_lPS3_PiS9_iPS1_21rocsparse_index_base_20rocsparse_fill_mode_20rocsparse_diag_type_b
		.amdhsa_group_segment_fixed_size 64
		.amdhsa_private_segment_fixed_size 0
		.amdhsa_kernarg_size 112
		.amdhsa_user_sgpr_count 6
		.amdhsa_user_sgpr_private_segment_buffer 1
		.amdhsa_user_sgpr_dispatch_ptr 0
		.amdhsa_user_sgpr_queue_ptr 0
		.amdhsa_user_sgpr_kernarg_segment_ptr 1
		.amdhsa_user_sgpr_dispatch_id 0
		.amdhsa_user_sgpr_flat_scratch_init 0
		.amdhsa_user_sgpr_kernarg_preload_length 0
		.amdhsa_user_sgpr_kernarg_preload_offset 0
		.amdhsa_user_sgpr_private_segment_size 0
		.amdhsa_uses_dynamic_stack 0
		.amdhsa_system_sgpr_private_segment_wavefront_offset 0
		.amdhsa_system_sgpr_workgroup_id_x 1
		.amdhsa_system_sgpr_workgroup_id_y 0
		.amdhsa_system_sgpr_workgroup_id_z 0
		.amdhsa_system_sgpr_workgroup_info 0
		.amdhsa_system_vgpr_workitem_id 0
		.amdhsa_next_free_vgpr 13
		.amdhsa_next_free_sgpr 39
		.amdhsa_accum_offset 16
		.amdhsa_reserve_vcc 1
		.amdhsa_reserve_flat_scratch 0
		.amdhsa_float_round_mode_32 0
		.amdhsa_float_round_mode_16_64 0
		.amdhsa_float_denorm_mode_32 3
		.amdhsa_float_denorm_mode_16_64 3
		.amdhsa_dx10_clamp 1
		.amdhsa_ieee_mode 1
		.amdhsa_fp16_overflow 0
		.amdhsa_tg_split 0
		.amdhsa_exception_fp_ieee_invalid_op 0
		.amdhsa_exception_fp_denorm_src 0
		.amdhsa_exception_fp_ieee_div_zero 0
		.amdhsa_exception_fp_ieee_overflow 0
		.amdhsa_exception_fp_ieee_underflow 0
		.amdhsa_exception_fp_ieee_inexact 0
		.amdhsa_exception_int_div_zero 0
	.end_amdhsa_kernel
	.section	.text._ZN9rocsparseL12csrsv_kernelILj1024ELj64ELb1EiifEEvT3_NS_24const_host_device_scalarIT4_EEPKT2_PKS1_PKS3_SB_lPS3_PiS9_iPS1_21rocsparse_index_base_20rocsparse_fill_mode_20rocsparse_diag_type_b,"axG",@progbits,_ZN9rocsparseL12csrsv_kernelILj1024ELj64ELb1EiifEEvT3_NS_24const_host_device_scalarIT4_EEPKT2_PKS1_PKS3_SB_lPS3_PiS9_iPS1_21rocsparse_index_base_20rocsparse_fill_mode_20rocsparse_diag_type_b,comdat
.Lfunc_end0:
	.size	_ZN9rocsparseL12csrsv_kernelILj1024ELj64ELb1EiifEEvT3_NS_24const_host_device_scalarIT4_EEPKT2_PKS1_PKS3_SB_lPS3_PiS9_iPS1_21rocsparse_index_base_20rocsparse_fill_mode_20rocsparse_diag_type_b, .Lfunc_end0-_ZN9rocsparseL12csrsv_kernelILj1024ELj64ELb1EiifEEvT3_NS_24const_host_device_scalarIT4_EEPKT2_PKS1_PKS3_SB_lPS3_PiS9_iPS1_21rocsparse_index_base_20rocsparse_fill_mode_20rocsparse_diag_type_b
                                        ; -- End function
	.section	.AMDGPU.csdata,"",@progbits
; Kernel info:
; codeLenInByte = 1400
; NumSgprs: 43
; NumVgprs: 13
; NumAgprs: 0
; TotalNumVgprs: 13
; ScratchSize: 0
; MemoryBound: 0
; FloatMode: 240
; IeeeMode: 1
; LDSByteSize: 64 bytes/workgroup (compile time only)
; SGPRBlocks: 5
; VGPRBlocks: 1
; NumSGPRsForWavesPerEU: 43
; NumVGPRsForWavesPerEU: 13
; AccumOffset: 16
; Occupancy: 8
; WaveLimiterHint : 1
; COMPUTE_PGM_RSRC2:SCRATCH_EN: 0
; COMPUTE_PGM_RSRC2:USER_SGPR: 6
; COMPUTE_PGM_RSRC2:TRAP_HANDLER: 0
; COMPUTE_PGM_RSRC2:TGID_X_EN: 1
; COMPUTE_PGM_RSRC2:TGID_Y_EN: 0
; COMPUTE_PGM_RSRC2:TGID_Z_EN: 0
; COMPUTE_PGM_RSRC2:TIDIG_COMP_CNT: 0
; COMPUTE_PGM_RSRC3_GFX90A:ACCUM_OFFSET: 3
; COMPUTE_PGM_RSRC3_GFX90A:TG_SPLIT: 0
	.section	.text._ZN9rocsparseL12csrsv_kernelILj1024ELj32ELb0EiifEEvT3_NS_24const_host_device_scalarIT4_EEPKT2_PKS1_PKS3_SB_lPS3_PiS9_iPS1_21rocsparse_index_base_20rocsparse_fill_mode_20rocsparse_diag_type_b,"axG",@progbits,_ZN9rocsparseL12csrsv_kernelILj1024ELj32ELb0EiifEEvT3_NS_24const_host_device_scalarIT4_EEPKT2_PKS1_PKS3_SB_lPS3_PiS9_iPS1_21rocsparse_index_base_20rocsparse_fill_mode_20rocsparse_diag_type_b,comdat
	.globl	_ZN9rocsparseL12csrsv_kernelILj1024ELj32ELb0EiifEEvT3_NS_24const_host_device_scalarIT4_EEPKT2_PKS1_PKS3_SB_lPS3_PiS9_iPS1_21rocsparse_index_base_20rocsparse_fill_mode_20rocsparse_diag_type_b ; -- Begin function _ZN9rocsparseL12csrsv_kernelILj1024ELj32ELb0EiifEEvT3_NS_24const_host_device_scalarIT4_EEPKT2_PKS1_PKS3_SB_lPS3_PiS9_iPS1_21rocsparse_index_base_20rocsparse_fill_mode_20rocsparse_diag_type_b
	.p2align	8
	.type	_ZN9rocsparseL12csrsv_kernelILj1024ELj32ELb0EiifEEvT3_NS_24const_host_device_scalarIT4_EEPKT2_PKS1_PKS3_SB_lPS3_PiS9_iPS1_21rocsparse_index_base_20rocsparse_fill_mode_20rocsparse_diag_type_b,@function
_ZN9rocsparseL12csrsv_kernelILj1024ELj32ELb0EiifEEvT3_NS_24const_host_device_scalarIT4_EEPKT2_PKS1_PKS3_SB_lPS3_PiS9_iPS1_21rocsparse_index_base_20rocsparse_fill_mode_20rocsparse_diag_type_b: ; @_ZN9rocsparseL12csrsv_kernelILj1024ELj32ELb0EiifEEvT3_NS_24const_host_device_scalarIT4_EEPKT2_PKS1_PKS3_SB_lPS3_PiS9_iPS1_21rocsparse_index_base_20rocsparse_fill_mode_20rocsparse_diag_type_b
; %bb.0:
	s_load_dwordx4 s[8:11], s[4:5], 0x60
	s_load_dwordx2 s[0:1], s[4:5], 0x8
	s_waitcnt lgkmcnt(0)
	s_bitcmp1_b32 s11, 0
	s_cselect_b64 s[2:3], -1, 0
	s_and_b64 vcc, exec, s[2:3]
	s_cbranch_vccnz .LBB1_2
; %bb.1:
	s_load_dword s0, s[0:1], 0x0
.LBB1_2:
	s_nop 0
	s_load_dword s2, s[4:5], 0x0
	v_lshrrev_b32_e32 v1, 5, v0
	v_readfirstlane_b32 s11, v1
	s_lshl_b32 s1, s6, 5
	s_add_i32 s1, s11, s1
	s_waitcnt lgkmcnt(0)
	s_cmp_ge_i32 s1, s2
	s_cbranch_scc1 .LBB1_46
; %bb.3:
	s_load_dword s6, s[4:5], 0x50
	s_load_dwordx2 s[2:3], s[4:5], 0x48
	v_and_b32_e32 v6, 31, v0
	v_cmp_eq_u32_e32 vcc, 0, v6
	v_mov_b32_e32 v10, 0
	s_waitcnt lgkmcnt(0)
	s_add_i32 s6, s1, s6
	s_ashr_i32 s7, s6, 31
	s_lshl_b64 s[6:7], s[6:7], 2
	s_add_u32 s2, s2, s6
	s_addc_u32 s3, s3, s7
	s_load_dword s20, s[2:3], 0x0
	s_load_dwordx2 s[16:17], s[4:5], 0x10
	s_load_dwordx4 s[12:15], s[4:5], 0x38
	s_waitcnt lgkmcnt(0)
	s_ashr_i32 s21, s20, 31
	s_lshl_b64 s[6:7], s[20:21], 2
	s_add_u32 s2, s16, s6
	s_addc_u32 s3, s17, s7
	s_load_dwordx2 s[2:3], s[2:3], 0x0
	s_and_saveexec_b64 s[16:17], vcc
	s_cbranch_execz .LBB1_5
; %bb.4:
	s_load_dwordx4 s[24:27], s[4:5], 0x28
	s_waitcnt lgkmcnt(0)
	s_mul_i32 s1, s20, s27
	s_mul_hi_u32 s18, s20, s26
	s_mul_i32 s19, s21, s26
	s_add_i32 s1, s18, s1
	s_add_i32 s19, s1, s19
	s_mul_i32 s18, s20, s26
	s_lshl_b64 s[18:19], s[18:19], 2
	s_add_u32 s18, s24, s18
	s_addc_u32 s19, s25, s19
	s_load_dword s1, s[18:19], 0x0
	s_waitcnt lgkmcnt(0)
	v_mov_b32_e32 v0, s1
	v_mul_f32_e32 v10, s0, v0
.LBB1_5:
	s_or_b64 exec, exec, s[16:17]
	v_subrev_u32_e32 v0, s8, v6
	s_waitcnt lgkmcnt(0)
	s_sub_i32 s21, s3, s8
	v_add_u32_e32 v0, s2, v0
	v_cmp_gt_i32_e32 vcc, s21, v0
	s_and_saveexec_b64 s[22:23], vcc
	s_cbranch_execz .LBB1_43
; %bb.6:
	s_load_dwordx2 s[24:25], s[4:5], 0x58
	s_load_dwordx4 s[16:19], s[4:5], 0x18
	s_cmp_eq_u32 s10, 0
	s_cselect_b64 s[26:27], -1, 0
	v_cndmask_b32_e64 v1, 0, 1, s[26:27]
	s_add_i32 s33, s20, s8
	s_lshl_b32 s38, s11, 2
	s_mov_b64 s[28:29], 0
	s_waitcnt lgkmcnt(0)
	v_mov_b32_e32 v7, s17
	v_mov_b32_e32 v8, s19
	;; [unrolled: 1-line block ×3, first 2 shown]
	v_cmp_ne_u32_e64 s[0:1], 1, v1
	s_branch .LBB1_8
.LBB1_7:                                ;   in Loop: Header=BB1_8 Depth=1
	s_or_b64 exec, exec, s[30:31]
	s_and_b64 s[2:3], exec, s[2:3]
	s_or_b64 s[28:29], s[2:3], s[28:29]
	v_mov_b32_e32 v10, v3
	s_andn2_b64 exec, exec, s[28:29]
	s_cbranch_execz .LBB1_42
.LBB1_8:                                ; =>This Loop Header: Depth=1
                                        ;     Child Loop BB1_33 Depth 2
	v_ashrrev_i32_e32 v1, 31, v0
	v_lshlrev_b64 v[2:3], 2, v[0:1]
	v_add_co_u32_e32 v4, vcc, s16, v2
	v_addc_co_u32_e32 v5, vcc, v7, v3, vcc
	global_load_dword v4, v[4:5], off glc slc
	v_add_co_u32_e32 v2, vcc, s18, v2
	v_addc_co_u32_e32 v3, vcc, v8, v3, vcc
	global_load_dword v1, v[2:3], off glc slc
	s_waitcnt vmcnt(1)
	v_subrev_u32_e32 v2, s8, v4
	v_cmp_eq_u32_e32 vcc, s20, v2
	s_and_b64 s[4:5], s[26:27], vcc
	s_waitcnt vmcnt(0)
	v_cmp_eq_f32_e64 s[2:3], 0, v1
	s_and_b64 s[2:3], s[2:3], s[4:5]
	s_and_saveexec_b64 s[4:5], s[2:3]
	s_cbranch_execz .LBB1_12
; %bb.9:                                ;   in Loop: Header=BB1_8 Depth=1
	v_mbcnt_lo_u32_b32 v1, exec_lo, 0
	v_mbcnt_hi_u32_b32 v1, exec_hi, v1
	v_cmp_eq_u32_e64 s[2:3], 0, v1
	s_and_saveexec_b64 s[30:31], s[2:3]
	s_cbranch_execz .LBB1_11
; %bb.10:                               ;   in Loop: Header=BB1_8 Depth=1
	v_mov_b32_e32 v1, s33
	global_atomic_smin v9, v1, s[24:25]
.LBB1_11:                               ;   in Loop: Header=BB1_8 Depth=1
	s_or_b64 exec, exec, s[30:31]
	v_mov_b32_e32 v1, 1.0
.LBB1_12:                               ;   in Loop: Header=BB1_8 Depth=1
	s_or_b64 exec, exec, s[4:5]
	v_cmp_ne_u32_e64 s[2:3], s20, v2
	s_cmp_lt_i32 s9, 1
	s_mov_b64 s[30:31], 0
	s_cbranch_scc1 .LBB1_21
; %bb.13:                               ;   in Loop: Header=BB1_8 Depth=1
	s_cmp_eq_u32 s9, 1
	s_cbranch_scc0 .LBB1_22
; %bb.14:                               ;   in Loop: Header=BB1_8 Depth=1
	v_cmp_le_i32_e64 s[4:5], s20, v2
	s_mov_b64 s[34:35], 0
	s_and_saveexec_b64 s[36:37], s[4:5]
	s_cbranch_execz .LBB1_20
; %bb.15:                               ;   in Loop: Header=BB1_8 Depth=1
	s_mov_b64 s[34:35], -1
	s_and_saveexec_b64 s[4:5], vcc
	s_xor_b64 s[4:5], exec, s[4:5]
	s_cbranch_execz .LBB1_19
; %bb.16:                               ;   in Loop: Header=BB1_8 Depth=1
	s_and_b64 vcc, exec, s[0:1]
	s_cbranch_vccnz .LBB1_18
; %bb.17:                               ;   in Loop: Header=BB1_8 Depth=1
	v_div_scale_f32 v3, s[34:35], v1, v1, 1.0
	v_rcp_f32_e32 v4, v3
	v_div_scale_f32 v5, vcc, 1.0, v1, 1.0
	v_fma_f32 v11, -v3, v4, 1.0
	v_fmac_f32_e32 v4, v11, v4
	v_mul_f32_e32 v11, v5, v4
	v_fma_f32 v12, -v3, v11, v5
	v_fmac_f32_e32 v11, v12, v4
	v_fma_f32 v3, -v3, v11, v5
	v_div_fmas_f32 v3, v3, v4, v11
	v_div_fixup_f32 v3, v3, v1, 1.0
	v_mov_b32_e32 v4, s38
	ds_write_b32 v4, v3
.LBB1_18:                               ;   in Loop: Header=BB1_8 Depth=1
	s_xor_b64 s[34:35], exec, -1
.LBB1_19:                               ;   in Loop: Header=BB1_8 Depth=1
	s_or_b64 exec, exec, s[4:5]
	s_and_b64 s[34:35], s[34:35], exec
.LBB1_20:                               ;   in Loop: Header=BB1_8 Depth=1
	s_or_b64 exec, exec, s[36:37]
	s_mov_b32 s17, 4
	v_mov_b32_e32 v3, v10
	s_branch .LBB1_23
.LBB1_21:                               ;   in Loop: Header=BB1_8 Depth=1
	s_mov_b64 s[34:35], 0
                                        ; implicit-def: $sgpr17
                                        ; implicit-def: $vgpr3
	s_cbranch_execnz .LBB1_24
	s_branch .LBB1_26
.LBB1_22:                               ;   in Loop: Header=BB1_8 Depth=1
	s_mov_b64 s[34:35], -1
                                        ; implicit-def: $sgpr17
                                        ; implicit-def: $vgpr3
.LBB1_23:                               ;   in Loop: Header=BB1_8 Depth=1
	s_branch .LBB1_26
.LBB1_24:                               ;   in Loop: Header=BB1_8 Depth=1
	s_cmp_eq_u32 s9, 0
	s_cbranch_scc1 .LBB1_28
; %bb.25:                               ;   in Loop: Header=BB1_8 Depth=1
	s_mov_b64 s[34:35], -1
                                        ; implicit-def: $sgpr17
                                        ; implicit-def: $vgpr3
.LBB1_26:                               ;   in Loop: Header=BB1_8 Depth=1
	v_mov_b32_e32 v4, s17
	s_and_saveexec_b64 s[2:3], s[34:35]
	s_cbranch_execnz .LBB1_31
.LBB1_27:                               ;   in Loop: Header=BB1_8 Depth=1
	s_or_b64 exec, exec, s[2:3]
	s_and_saveexec_b64 s[2:3], s[30:31]
	s_cbranch_execnz .LBB1_35
	s_branch .LBB1_38
.LBB1_28:                               ;   in Loop: Header=BB1_8 Depth=1
	v_cmp_ge_i32_e32 vcc, s20, v2
	s_mov_b64 s[34:35], 0
	s_and_saveexec_b64 s[4:5], vcc
; %bb.29:                               ;   in Loop: Header=BB1_8 Depth=1
	s_mov_b64 s[30:31], exec
	s_and_b64 s[34:35], s[2:3], exec
; %bb.30:                               ;   in Loop: Header=BB1_8 Depth=1
	s_or_b64 exec, exec, s[4:5]
	s_mov_b32 s17, 2
	v_mov_b32_e32 v3, v10
	v_mov_b32_e32 v4, s17
	s_and_saveexec_b64 s[2:3], s[34:35]
	s_cbranch_execz .LBB1_27
.LBB1_31:                               ;   in Loop: Header=BB1_8 Depth=1
	v_ashrrev_i32_e32 v3, 31, v2
	v_lshlrev_b64 v[2:3], 2, v[2:3]
	v_mov_b32_e32 v5, s15
	v_add_co_u32_e32 v4, vcc, s14, v2
	v_addc_co_u32_e32 v5, vcc, v5, v3, vcc
	global_load_dword v11, v[4:5], off glc
	s_waitcnt vmcnt(0)
	v_cmp_eq_u32_e32 vcc, 0, v11
	s_and_saveexec_b64 s[4:5], vcc
	s_cbranch_execz .LBB1_34
; %bb.32:                               ;   in Loop: Header=BB1_8 Depth=1
	s_mov_b64 s[34:35], 0
.LBB1_33:                               ;   Parent Loop BB1_8 Depth=1
                                        ; =>  This Inner Loop Header: Depth=2
	global_load_dword v11, v[4:5], off glc
	s_waitcnt vmcnt(0)
	v_cmp_ne_u32_e32 vcc, 0, v11
	s_or_b64 s[34:35], vcc, s[34:35]
	s_andn2_b64 exec, exec, s[34:35]
	s_cbranch_execnz .LBB1_33
.LBB1_34:                               ;   in Loop: Header=BB1_8 Depth=1
	s_or_b64 exec, exec, s[4:5]
	v_mov_b32_e32 v4, s13
	v_add_co_u32_e32 v2, vcc, s12, v2
	v_addc_co_u32_e32 v3, vcc, v4, v3, vcc
	s_waitcnt lgkmcnt(0)
	buffer_wbinvl1_vol
	global_load_dword v2, v[2:3], off
	v_mov_b32_e32 v4, 0
	s_andn2_b64 s[30:31], s[30:31], exec
	s_waitcnt vmcnt(0)
	v_fma_f32 v3, -v1, v2, v10
	s_or_b64 exec, exec, s[2:3]
	s_and_saveexec_b64 s[2:3], s[30:31]
	s_cbranch_execz .LBB1_38
.LBB1_35:                               ;   in Loop: Header=BB1_8 Depth=1
	s_and_b64 vcc, exec, s[0:1]
	s_cbranch_vccnz .LBB1_37
; %bb.36:                               ;   in Loop: Header=BB1_8 Depth=1
	v_div_scale_f32 v2, s[4:5], v1, v1, 1.0
	v_rcp_f32_e32 v3, v2
	v_div_scale_f32 v4, vcc, 1.0, v1, 1.0
	v_fma_f32 v5, -v2, v3, 1.0
	v_fmac_f32_e32 v3, v5, v3
	v_mul_f32_e32 v5, v4, v3
	v_fma_f32 v11, -v2, v5, v4
	v_fmac_f32_e32 v5, v11, v3
	v_fma_f32 v2, -v2, v5, v4
	v_div_fmas_f32 v2, v2, v3, v5
	v_div_fixup_f32 v1, v2, v1, 1.0
	v_mov_b32_e32 v2, s38
	ds_write_b32 v2, v1
.LBB1_37:                               ;   in Loop: Header=BB1_8 Depth=1
	v_mov_b32_e32 v4, 2
	v_mov_b32_e32 v3, v10
.LBB1_38:                               ;   in Loop: Header=BB1_8 Depth=1
	s_or_b64 exec, exec, s[2:3]
	v_cmp_gt_i32_e32 vcc, 4, v4
	s_mov_b64 s[2:3], -1
	s_mov_b64 s[4:5], -1
	s_and_saveexec_b64 s[30:31], vcc
; %bb.39:                               ;   in Loop: Header=BB1_8 Depth=1
	v_cmp_eq_u32_e32 vcc, 0, v4
	s_orn2_b64 s[4:5], vcc, exec
; %bb.40:                               ;   in Loop: Header=BB1_8 Depth=1
	s_or_b64 exec, exec, s[30:31]
	s_and_saveexec_b64 s[30:31], s[4:5]
	s_cbranch_execz .LBB1_7
; %bb.41:                               ;   in Loop: Header=BB1_8 Depth=1
	v_add_u32_e32 v0, 32, v0
	v_cmp_le_i32_e32 vcc, s21, v0
	s_orn2_b64 s[2:3], vcc, exec
	s_branch .LBB1_7
.LBB1_42:
	s_or_b64 exec, exec, s[28:29]
	v_mov_b32_e32 v10, v3
.LBB1_43:
	s_or_b64 exec, exec, s[22:23]
	s_nop 0
	v_mov_b32_dpp v0, v10 row_shr:1 row_mask:0xf bank_mask:0xf
	v_add_f32_e32 v0, v10, v0
	s_cmp_lg_u32 s10, 0
	s_nop 0
	v_mov_b32_dpp v1, v0 row_shr:2 row_mask:0xf bank_mask:0xf
	v_add_f32_e32 v0, v0, v1
	s_nop 1
	v_mov_b32_dpp v1, v0 row_shr:4 row_mask:0xf bank_mask:0xe
	v_add_f32_e32 v0, v0, v1
	;; [unrolled: 3-line block ×3, first 2 shown]
	s_nop 1
	v_mov_b32_dpp v1, v0 row_bcast:15 row_mask:0xa bank_mask:0xf
	v_add_f32_e32 v0, v0, v1
	s_cbranch_scc0 .LBB1_47
; %bb.44:
	v_cmp_eq_u32_e32 vcc, 31, v6
	s_and_saveexec_b64 s[0:1], vcc
	s_cbranch_execz .LBB1_46
.LBB1_45:
	s_add_u32 s0, s12, s6
	s_addc_u32 s1, s13, s7
	v_mov_b32_e32 v1, 0
	s_add_u32 s2, s14, s6
	s_addc_u32 s3, s15, s7
	global_store_dword v1, v0, s[0:1] glc slc
	v_mov_b32_e32 v0, 1
	s_waitcnt vmcnt(0)
	global_store_dword v1, v0, s[2:3]
.LBB1_46:
	s_endpgm
.LBB1_47:
	s_lshl_b32 s0, s11, 2
	v_mov_b32_e32 v1, s0
	s_waitcnt lgkmcnt(0)
	ds_read_b32 v1, v1
	s_waitcnt lgkmcnt(0)
	v_mul_f32_e32 v0, v0, v1
	v_cmp_eq_u32_e32 vcc, 31, v6
	s_and_saveexec_b64 s[0:1], vcc
	s_cbranch_execnz .LBB1_45
	s_branch .LBB1_46
	.section	.rodata,"a",@progbits
	.p2align	6, 0x0
	.amdhsa_kernel _ZN9rocsparseL12csrsv_kernelILj1024ELj32ELb0EiifEEvT3_NS_24const_host_device_scalarIT4_EEPKT2_PKS1_PKS3_SB_lPS3_PiS9_iPS1_21rocsparse_index_base_20rocsparse_fill_mode_20rocsparse_diag_type_b
		.amdhsa_group_segment_fixed_size 128
		.amdhsa_private_segment_fixed_size 0
		.amdhsa_kernarg_size 112
		.amdhsa_user_sgpr_count 6
		.amdhsa_user_sgpr_private_segment_buffer 1
		.amdhsa_user_sgpr_dispatch_ptr 0
		.amdhsa_user_sgpr_queue_ptr 0
		.amdhsa_user_sgpr_kernarg_segment_ptr 1
		.amdhsa_user_sgpr_dispatch_id 0
		.amdhsa_user_sgpr_flat_scratch_init 0
		.amdhsa_user_sgpr_kernarg_preload_length 0
		.amdhsa_user_sgpr_kernarg_preload_offset 0
		.amdhsa_user_sgpr_private_segment_size 0
		.amdhsa_uses_dynamic_stack 0
		.amdhsa_system_sgpr_private_segment_wavefront_offset 0
		.amdhsa_system_sgpr_workgroup_id_x 1
		.amdhsa_system_sgpr_workgroup_id_y 0
		.amdhsa_system_sgpr_workgroup_id_z 0
		.amdhsa_system_sgpr_workgroup_info 0
		.amdhsa_system_vgpr_workitem_id 0
		.amdhsa_next_free_vgpr 13
		.amdhsa_next_free_sgpr 39
		.amdhsa_accum_offset 16
		.amdhsa_reserve_vcc 1
		.amdhsa_reserve_flat_scratch 0
		.amdhsa_float_round_mode_32 0
		.amdhsa_float_round_mode_16_64 0
		.amdhsa_float_denorm_mode_32 3
		.amdhsa_float_denorm_mode_16_64 3
		.amdhsa_dx10_clamp 1
		.amdhsa_ieee_mode 1
		.amdhsa_fp16_overflow 0
		.amdhsa_tg_split 0
		.amdhsa_exception_fp_ieee_invalid_op 0
		.amdhsa_exception_fp_denorm_src 0
		.amdhsa_exception_fp_ieee_div_zero 0
		.amdhsa_exception_fp_ieee_overflow 0
		.amdhsa_exception_fp_ieee_underflow 0
		.amdhsa_exception_fp_ieee_inexact 0
		.amdhsa_exception_int_div_zero 0
	.end_amdhsa_kernel
	.section	.text._ZN9rocsparseL12csrsv_kernelILj1024ELj32ELb0EiifEEvT3_NS_24const_host_device_scalarIT4_EEPKT2_PKS1_PKS3_SB_lPS3_PiS9_iPS1_21rocsparse_index_base_20rocsparse_fill_mode_20rocsparse_diag_type_b,"axG",@progbits,_ZN9rocsparseL12csrsv_kernelILj1024ELj32ELb0EiifEEvT3_NS_24const_host_device_scalarIT4_EEPKT2_PKS1_PKS3_SB_lPS3_PiS9_iPS1_21rocsparse_index_base_20rocsparse_fill_mode_20rocsparse_diag_type_b,comdat
.Lfunc_end1:
	.size	_ZN9rocsparseL12csrsv_kernelILj1024ELj32ELb0EiifEEvT3_NS_24const_host_device_scalarIT4_EEPKT2_PKS1_PKS3_SB_lPS3_PiS9_iPS1_21rocsparse_index_base_20rocsparse_fill_mode_20rocsparse_diag_type_b, .Lfunc_end1-_ZN9rocsparseL12csrsv_kernelILj1024ELj32ELb0EiifEEvT3_NS_24const_host_device_scalarIT4_EEPKT2_PKS1_PKS3_SB_lPS3_PiS9_iPS1_21rocsparse_index_base_20rocsparse_fill_mode_20rocsparse_diag_type_b
                                        ; -- End function
	.section	.AMDGPU.csdata,"",@progbits
; Kernel info:
; codeLenInByte = 1328
; NumSgprs: 43
; NumVgprs: 13
; NumAgprs: 0
; TotalNumVgprs: 13
; ScratchSize: 0
; MemoryBound: 0
; FloatMode: 240
; IeeeMode: 1
; LDSByteSize: 128 bytes/workgroup (compile time only)
; SGPRBlocks: 5
; VGPRBlocks: 1
; NumSGPRsForWavesPerEU: 43
; NumVGPRsForWavesPerEU: 13
; AccumOffset: 16
; Occupancy: 8
; WaveLimiterHint : 1
; COMPUTE_PGM_RSRC2:SCRATCH_EN: 0
; COMPUTE_PGM_RSRC2:USER_SGPR: 6
; COMPUTE_PGM_RSRC2:TRAP_HANDLER: 0
; COMPUTE_PGM_RSRC2:TGID_X_EN: 1
; COMPUTE_PGM_RSRC2:TGID_Y_EN: 0
; COMPUTE_PGM_RSRC2:TGID_Z_EN: 0
; COMPUTE_PGM_RSRC2:TIDIG_COMP_CNT: 0
; COMPUTE_PGM_RSRC3_GFX90A:ACCUM_OFFSET: 3
; COMPUTE_PGM_RSRC3_GFX90A:TG_SPLIT: 0
	.section	.text._ZN9rocsparseL12csrsv_kernelILj1024ELj64ELb0EiifEEvT3_NS_24const_host_device_scalarIT4_EEPKT2_PKS1_PKS3_SB_lPS3_PiS9_iPS1_21rocsparse_index_base_20rocsparse_fill_mode_20rocsparse_diag_type_b,"axG",@progbits,_ZN9rocsparseL12csrsv_kernelILj1024ELj64ELb0EiifEEvT3_NS_24const_host_device_scalarIT4_EEPKT2_PKS1_PKS3_SB_lPS3_PiS9_iPS1_21rocsparse_index_base_20rocsparse_fill_mode_20rocsparse_diag_type_b,comdat
	.globl	_ZN9rocsparseL12csrsv_kernelILj1024ELj64ELb0EiifEEvT3_NS_24const_host_device_scalarIT4_EEPKT2_PKS1_PKS3_SB_lPS3_PiS9_iPS1_21rocsparse_index_base_20rocsparse_fill_mode_20rocsparse_diag_type_b ; -- Begin function _ZN9rocsparseL12csrsv_kernelILj1024ELj64ELb0EiifEEvT3_NS_24const_host_device_scalarIT4_EEPKT2_PKS1_PKS3_SB_lPS3_PiS9_iPS1_21rocsparse_index_base_20rocsparse_fill_mode_20rocsparse_diag_type_b
	.p2align	8
	.type	_ZN9rocsparseL12csrsv_kernelILj1024ELj64ELb0EiifEEvT3_NS_24const_host_device_scalarIT4_EEPKT2_PKS1_PKS3_SB_lPS3_PiS9_iPS1_21rocsparse_index_base_20rocsparse_fill_mode_20rocsparse_diag_type_b,@function
_ZN9rocsparseL12csrsv_kernelILj1024ELj64ELb0EiifEEvT3_NS_24const_host_device_scalarIT4_EEPKT2_PKS1_PKS3_SB_lPS3_PiS9_iPS1_21rocsparse_index_base_20rocsparse_fill_mode_20rocsparse_diag_type_b: ; @_ZN9rocsparseL12csrsv_kernelILj1024ELj64ELb0EiifEEvT3_NS_24const_host_device_scalarIT4_EEPKT2_PKS1_PKS3_SB_lPS3_PiS9_iPS1_21rocsparse_index_base_20rocsparse_fill_mode_20rocsparse_diag_type_b
; %bb.0:
	s_load_dwordx4 s[8:11], s[4:5], 0x60
	s_load_dwordx2 s[0:1], s[4:5], 0x8
	s_waitcnt lgkmcnt(0)
	s_bitcmp1_b32 s11, 0
	s_cselect_b64 s[2:3], -1, 0
	s_and_b64 vcc, exec, s[2:3]
	s_cbranch_vccnz .LBB2_2
; %bb.1:
	s_load_dword s0, s[0:1], 0x0
.LBB2_2:
	s_nop 0
	s_load_dword s2, s[4:5], 0x0
	v_lshrrev_b32_e32 v1, 6, v0
	v_readfirstlane_b32 s11, v1
	s_lshl_b32 s1, s6, 4
	s_add_i32 s1, s11, s1
	s_waitcnt lgkmcnt(0)
	s_cmp_ge_i32 s1, s2
	s_cbranch_scc1 .LBB2_46
; %bb.3:
	s_load_dword s6, s[4:5], 0x50
	s_load_dwordx2 s[2:3], s[4:5], 0x48
	v_and_b32_e32 v6, 63, v0
	v_cmp_eq_u32_e32 vcc, 0, v6
	v_mov_b32_e32 v10, 0
	s_waitcnt lgkmcnt(0)
	s_add_i32 s6, s1, s6
	s_ashr_i32 s7, s6, 31
	s_lshl_b64 s[6:7], s[6:7], 2
	s_add_u32 s2, s2, s6
	s_addc_u32 s3, s3, s7
	s_load_dword s20, s[2:3], 0x0
	s_load_dwordx2 s[16:17], s[4:5], 0x10
	s_load_dwordx4 s[12:15], s[4:5], 0x38
	s_waitcnt lgkmcnt(0)
	s_ashr_i32 s21, s20, 31
	s_lshl_b64 s[6:7], s[20:21], 2
	s_add_u32 s2, s16, s6
	s_addc_u32 s3, s17, s7
	s_load_dwordx2 s[2:3], s[2:3], 0x0
	s_and_saveexec_b64 s[16:17], vcc
	s_cbranch_execz .LBB2_5
; %bb.4:
	s_load_dwordx4 s[24:27], s[4:5], 0x28
	s_waitcnt lgkmcnt(0)
	s_mul_i32 s1, s20, s27
	s_mul_hi_u32 s18, s20, s26
	s_mul_i32 s19, s21, s26
	s_add_i32 s1, s18, s1
	s_add_i32 s19, s1, s19
	s_mul_i32 s18, s20, s26
	s_lshl_b64 s[18:19], s[18:19], 2
	s_add_u32 s18, s24, s18
	s_addc_u32 s19, s25, s19
	s_load_dword s1, s[18:19], 0x0
	s_waitcnt lgkmcnt(0)
	v_mov_b32_e32 v0, s1
	v_mul_f32_e32 v10, s0, v0
.LBB2_5:
	s_or_b64 exec, exec, s[16:17]
	v_subrev_u32_e32 v0, s8, v6
	s_waitcnt lgkmcnt(0)
	s_sub_i32 s21, s3, s8
	v_add_u32_e32 v0, s2, v0
	v_cmp_gt_i32_e32 vcc, s21, v0
	s_and_saveexec_b64 s[22:23], vcc
	s_cbranch_execz .LBB2_43
; %bb.6:
	s_load_dwordx2 s[24:25], s[4:5], 0x58
	s_load_dwordx4 s[16:19], s[4:5], 0x18
	s_cmp_eq_u32 s10, 0
	s_cselect_b64 s[26:27], -1, 0
	v_cndmask_b32_e64 v1, 0, 1, s[26:27]
	s_add_i32 s33, s20, s8
	s_lshl_b32 s38, s11, 2
	s_mov_b64 s[28:29], 0
	s_waitcnt lgkmcnt(0)
	v_mov_b32_e32 v7, s17
	v_mov_b32_e32 v8, s19
	;; [unrolled: 1-line block ×3, first 2 shown]
	v_cmp_ne_u32_e64 s[0:1], 1, v1
	s_branch .LBB2_8
.LBB2_7:                                ;   in Loop: Header=BB2_8 Depth=1
	s_or_b64 exec, exec, s[30:31]
	s_and_b64 s[2:3], exec, s[2:3]
	s_or_b64 s[28:29], s[2:3], s[28:29]
	v_mov_b32_e32 v10, v3
	s_andn2_b64 exec, exec, s[28:29]
	s_cbranch_execz .LBB2_42
.LBB2_8:                                ; =>This Loop Header: Depth=1
                                        ;     Child Loop BB2_33 Depth 2
	v_ashrrev_i32_e32 v1, 31, v0
	v_lshlrev_b64 v[2:3], 2, v[0:1]
	v_add_co_u32_e32 v4, vcc, s16, v2
	v_addc_co_u32_e32 v5, vcc, v7, v3, vcc
	global_load_dword v4, v[4:5], off glc slc
	v_add_co_u32_e32 v2, vcc, s18, v2
	v_addc_co_u32_e32 v3, vcc, v8, v3, vcc
	global_load_dword v1, v[2:3], off glc slc
	s_waitcnt vmcnt(1)
	v_subrev_u32_e32 v2, s8, v4
	v_cmp_eq_u32_e32 vcc, s20, v2
	s_and_b64 s[4:5], s[26:27], vcc
	s_waitcnt vmcnt(0)
	v_cmp_eq_f32_e64 s[2:3], 0, v1
	s_and_b64 s[2:3], s[2:3], s[4:5]
	s_and_saveexec_b64 s[4:5], s[2:3]
	s_cbranch_execz .LBB2_12
; %bb.9:                                ;   in Loop: Header=BB2_8 Depth=1
	v_mbcnt_lo_u32_b32 v1, exec_lo, 0
	v_mbcnt_hi_u32_b32 v1, exec_hi, v1
	v_cmp_eq_u32_e64 s[2:3], 0, v1
	s_and_saveexec_b64 s[30:31], s[2:3]
	s_cbranch_execz .LBB2_11
; %bb.10:                               ;   in Loop: Header=BB2_8 Depth=1
	v_mov_b32_e32 v1, s33
	global_atomic_smin v9, v1, s[24:25]
.LBB2_11:                               ;   in Loop: Header=BB2_8 Depth=1
	s_or_b64 exec, exec, s[30:31]
	v_mov_b32_e32 v1, 1.0
.LBB2_12:                               ;   in Loop: Header=BB2_8 Depth=1
	s_or_b64 exec, exec, s[4:5]
	v_cmp_ne_u32_e64 s[2:3], s20, v2
	s_cmp_lt_i32 s9, 1
	s_mov_b64 s[30:31], 0
	s_cbranch_scc1 .LBB2_21
; %bb.13:                               ;   in Loop: Header=BB2_8 Depth=1
	s_cmp_eq_u32 s9, 1
	s_cbranch_scc0 .LBB2_22
; %bb.14:                               ;   in Loop: Header=BB2_8 Depth=1
	v_cmp_le_i32_e64 s[4:5], s20, v2
	s_mov_b64 s[34:35], 0
	s_and_saveexec_b64 s[36:37], s[4:5]
	s_cbranch_execz .LBB2_20
; %bb.15:                               ;   in Loop: Header=BB2_8 Depth=1
	s_mov_b64 s[34:35], -1
	s_and_saveexec_b64 s[4:5], vcc
	s_xor_b64 s[4:5], exec, s[4:5]
	s_cbranch_execz .LBB2_19
; %bb.16:                               ;   in Loop: Header=BB2_8 Depth=1
	s_and_b64 vcc, exec, s[0:1]
	s_cbranch_vccnz .LBB2_18
; %bb.17:                               ;   in Loop: Header=BB2_8 Depth=1
	v_div_scale_f32 v3, s[34:35], v1, v1, 1.0
	v_rcp_f32_e32 v4, v3
	v_div_scale_f32 v5, vcc, 1.0, v1, 1.0
	v_fma_f32 v11, -v3, v4, 1.0
	v_fmac_f32_e32 v4, v11, v4
	v_mul_f32_e32 v11, v5, v4
	v_fma_f32 v12, -v3, v11, v5
	v_fmac_f32_e32 v11, v12, v4
	v_fma_f32 v3, -v3, v11, v5
	v_div_fmas_f32 v3, v3, v4, v11
	v_div_fixup_f32 v3, v3, v1, 1.0
	v_mov_b32_e32 v4, s38
	ds_write_b32 v4, v3
.LBB2_18:                               ;   in Loop: Header=BB2_8 Depth=1
	s_xor_b64 s[34:35], exec, -1
.LBB2_19:                               ;   in Loop: Header=BB2_8 Depth=1
	s_or_b64 exec, exec, s[4:5]
	s_and_b64 s[34:35], s[34:35], exec
.LBB2_20:                               ;   in Loop: Header=BB2_8 Depth=1
	s_or_b64 exec, exec, s[36:37]
	s_mov_b32 s17, 4
	v_mov_b32_e32 v3, v10
	s_branch .LBB2_23
.LBB2_21:                               ;   in Loop: Header=BB2_8 Depth=1
	s_mov_b64 s[34:35], 0
                                        ; implicit-def: $sgpr17
                                        ; implicit-def: $vgpr3
	s_cbranch_execnz .LBB2_24
	s_branch .LBB2_26
.LBB2_22:                               ;   in Loop: Header=BB2_8 Depth=1
	s_mov_b64 s[34:35], -1
                                        ; implicit-def: $sgpr17
                                        ; implicit-def: $vgpr3
.LBB2_23:                               ;   in Loop: Header=BB2_8 Depth=1
	s_branch .LBB2_26
.LBB2_24:                               ;   in Loop: Header=BB2_8 Depth=1
	s_cmp_eq_u32 s9, 0
	s_cbranch_scc1 .LBB2_28
; %bb.25:                               ;   in Loop: Header=BB2_8 Depth=1
	s_mov_b64 s[34:35], -1
                                        ; implicit-def: $sgpr17
                                        ; implicit-def: $vgpr3
.LBB2_26:                               ;   in Loop: Header=BB2_8 Depth=1
	v_mov_b32_e32 v4, s17
	s_and_saveexec_b64 s[2:3], s[34:35]
	s_cbranch_execnz .LBB2_31
.LBB2_27:                               ;   in Loop: Header=BB2_8 Depth=1
	s_or_b64 exec, exec, s[2:3]
	s_and_saveexec_b64 s[2:3], s[30:31]
	s_cbranch_execnz .LBB2_35
	s_branch .LBB2_38
.LBB2_28:                               ;   in Loop: Header=BB2_8 Depth=1
	v_cmp_ge_i32_e32 vcc, s20, v2
	s_mov_b64 s[34:35], 0
	s_and_saveexec_b64 s[4:5], vcc
; %bb.29:                               ;   in Loop: Header=BB2_8 Depth=1
	s_mov_b64 s[30:31], exec
	s_and_b64 s[34:35], s[2:3], exec
; %bb.30:                               ;   in Loop: Header=BB2_8 Depth=1
	s_or_b64 exec, exec, s[4:5]
	s_mov_b32 s17, 2
	v_mov_b32_e32 v3, v10
	v_mov_b32_e32 v4, s17
	s_and_saveexec_b64 s[2:3], s[34:35]
	s_cbranch_execz .LBB2_27
.LBB2_31:                               ;   in Loop: Header=BB2_8 Depth=1
	v_ashrrev_i32_e32 v3, 31, v2
	v_lshlrev_b64 v[2:3], 2, v[2:3]
	v_mov_b32_e32 v5, s15
	v_add_co_u32_e32 v4, vcc, s14, v2
	v_addc_co_u32_e32 v5, vcc, v5, v3, vcc
	global_load_dword v11, v[4:5], off glc
	s_waitcnt vmcnt(0)
	v_cmp_eq_u32_e32 vcc, 0, v11
	s_and_saveexec_b64 s[4:5], vcc
	s_cbranch_execz .LBB2_34
; %bb.32:                               ;   in Loop: Header=BB2_8 Depth=1
	s_mov_b64 s[34:35], 0
.LBB2_33:                               ;   Parent Loop BB2_8 Depth=1
                                        ; =>  This Inner Loop Header: Depth=2
	global_load_dword v11, v[4:5], off glc
	s_waitcnt vmcnt(0)
	v_cmp_ne_u32_e32 vcc, 0, v11
	s_or_b64 s[34:35], vcc, s[34:35]
	s_andn2_b64 exec, exec, s[34:35]
	s_cbranch_execnz .LBB2_33
.LBB2_34:                               ;   in Loop: Header=BB2_8 Depth=1
	s_or_b64 exec, exec, s[4:5]
	v_mov_b32_e32 v4, s13
	v_add_co_u32_e32 v2, vcc, s12, v2
	v_addc_co_u32_e32 v3, vcc, v4, v3, vcc
	s_waitcnt lgkmcnt(0)
	buffer_wbinvl1_vol
	global_load_dword v2, v[2:3], off
	v_mov_b32_e32 v4, 0
	s_andn2_b64 s[30:31], s[30:31], exec
	s_waitcnt vmcnt(0)
	v_fma_f32 v3, -v1, v2, v10
	s_or_b64 exec, exec, s[2:3]
	s_and_saveexec_b64 s[2:3], s[30:31]
	s_cbranch_execz .LBB2_38
.LBB2_35:                               ;   in Loop: Header=BB2_8 Depth=1
	s_and_b64 vcc, exec, s[0:1]
	s_cbranch_vccnz .LBB2_37
; %bb.36:                               ;   in Loop: Header=BB2_8 Depth=1
	v_div_scale_f32 v2, s[4:5], v1, v1, 1.0
	v_rcp_f32_e32 v3, v2
	v_div_scale_f32 v4, vcc, 1.0, v1, 1.0
	v_fma_f32 v5, -v2, v3, 1.0
	v_fmac_f32_e32 v3, v5, v3
	v_mul_f32_e32 v5, v4, v3
	v_fma_f32 v11, -v2, v5, v4
	v_fmac_f32_e32 v5, v11, v3
	v_fma_f32 v2, -v2, v5, v4
	v_div_fmas_f32 v2, v2, v3, v5
	v_div_fixup_f32 v1, v2, v1, 1.0
	v_mov_b32_e32 v2, s38
	ds_write_b32 v2, v1
.LBB2_37:                               ;   in Loop: Header=BB2_8 Depth=1
	v_mov_b32_e32 v4, 2
	v_mov_b32_e32 v3, v10
.LBB2_38:                               ;   in Loop: Header=BB2_8 Depth=1
	s_or_b64 exec, exec, s[2:3]
	v_cmp_gt_i32_e32 vcc, 4, v4
	s_mov_b64 s[2:3], -1
	s_mov_b64 s[4:5], -1
	s_and_saveexec_b64 s[30:31], vcc
; %bb.39:                               ;   in Loop: Header=BB2_8 Depth=1
	v_cmp_eq_u32_e32 vcc, 0, v4
	s_orn2_b64 s[4:5], vcc, exec
; %bb.40:                               ;   in Loop: Header=BB2_8 Depth=1
	s_or_b64 exec, exec, s[30:31]
	s_and_saveexec_b64 s[30:31], s[4:5]
	s_cbranch_execz .LBB2_7
; %bb.41:                               ;   in Loop: Header=BB2_8 Depth=1
	v_add_u32_e32 v0, 64, v0
	v_cmp_le_i32_e32 vcc, s21, v0
	s_orn2_b64 s[2:3], vcc, exec
	s_branch .LBB2_7
.LBB2_42:
	s_or_b64 exec, exec, s[28:29]
	v_mov_b32_e32 v10, v3
.LBB2_43:
	s_or_b64 exec, exec, s[22:23]
	s_nop 0
	v_mov_b32_dpp v0, v10 row_shr:1 row_mask:0xf bank_mask:0xf
	v_add_f32_e32 v0, v10, v0
	s_cmp_lg_u32 s10, 0
	s_nop 0
	v_mov_b32_dpp v1, v0 row_shr:2 row_mask:0xf bank_mask:0xf
	v_add_f32_e32 v0, v0, v1
	s_nop 1
	v_mov_b32_dpp v1, v0 row_shr:4 row_mask:0xf bank_mask:0xe
	v_add_f32_e32 v0, v0, v1
	;; [unrolled: 3-line block ×3, first 2 shown]
	s_nop 1
	v_mov_b32_dpp v1, v0 row_bcast:15 row_mask:0xa bank_mask:0xf
	v_add_f32_e32 v0, v0, v1
	s_nop 1
	v_mov_b32_dpp v1, v0 row_bcast:31 row_mask:0xc bank_mask:0xf
	v_add_f32_e32 v0, v0, v1
	s_cbranch_scc0 .LBB2_47
; %bb.44:
	v_cmp_eq_u32_e32 vcc, 63, v6
	s_and_saveexec_b64 s[0:1], vcc
	s_cbranch_execz .LBB2_46
.LBB2_45:
	s_add_u32 s0, s12, s6
	s_addc_u32 s1, s13, s7
	v_mov_b32_e32 v1, 0
	s_add_u32 s2, s14, s6
	s_addc_u32 s3, s15, s7
	global_store_dword v1, v0, s[0:1] glc slc
	v_mov_b32_e32 v0, 1
	s_waitcnt vmcnt(0)
	global_store_dword v1, v0, s[2:3]
.LBB2_46:
	s_endpgm
.LBB2_47:
	s_lshl_b32 s0, s11, 2
	v_mov_b32_e32 v1, s0
	s_waitcnt lgkmcnt(0)
	ds_read_b32 v1, v1
	s_waitcnt lgkmcnt(0)
	v_mul_f32_e32 v0, v0, v1
	v_cmp_eq_u32_e32 vcc, 63, v6
	s_and_saveexec_b64 s[0:1], vcc
	s_cbranch_execnz .LBB2_45
	s_branch .LBB2_46
	.section	.rodata,"a",@progbits
	.p2align	6, 0x0
	.amdhsa_kernel _ZN9rocsparseL12csrsv_kernelILj1024ELj64ELb0EiifEEvT3_NS_24const_host_device_scalarIT4_EEPKT2_PKS1_PKS3_SB_lPS3_PiS9_iPS1_21rocsparse_index_base_20rocsparse_fill_mode_20rocsparse_diag_type_b
		.amdhsa_group_segment_fixed_size 64
		.amdhsa_private_segment_fixed_size 0
		.amdhsa_kernarg_size 112
		.amdhsa_user_sgpr_count 6
		.amdhsa_user_sgpr_private_segment_buffer 1
		.amdhsa_user_sgpr_dispatch_ptr 0
		.amdhsa_user_sgpr_queue_ptr 0
		.amdhsa_user_sgpr_kernarg_segment_ptr 1
		.amdhsa_user_sgpr_dispatch_id 0
		.amdhsa_user_sgpr_flat_scratch_init 0
		.amdhsa_user_sgpr_kernarg_preload_length 0
		.amdhsa_user_sgpr_kernarg_preload_offset 0
		.amdhsa_user_sgpr_private_segment_size 0
		.amdhsa_uses_dynamic_stack 0
		.amdhsa_system_sgpr_private_segment_wavefront_offset 0
		.amdhsa_system_sgpr_workgroup_id_x 1
		.amdhsa_system_sgpr_workgroup_id_y 0
		.amdhsa_system_sgpr_workgroup_id_z 0
		.amdhsa_system_sgpr_workgroup_info 0
		.amdhsa_system_vgpr_workitem_id 0
		.amdhsa_next_free_vgpr 13
		.amdhsa_next_free_sgpr 39
		.amdhsa_accum_offset 16
		.amdhsa_reserve_vcc 1
		.amdhsa_reserve_flat_scratch 0
		.amdhsa_float_round_mode_32 0
		.amdhsa_float_round_mode_16_64 0
		.amdhsa_float_denorm_mode_32 3
		.amdhsa_float_denorm_mode_16_64 3
		.amdhsa_dx10_clamp 1
		.amdhsa_ieee_mode 1
		.amdhsa_fp16_overflow 0
		.amdhsa_tg_split 0
		.amdhsa_exception_fp_ieee_invalid_op 0
		.amdhsa_exception_fp_denorm_src 0
		.amdhsa_exception_fp_ieee_div_zero 0
		.amdhsa_exception_fp_ieee_overflow 0
		.amdhsa_exception_fp_ieee_underflow 0
		.amdhsa_exception_fp_ieee_inexact 0
		.amdhsa_exception_int_div_zero 0
	.end_amdhsa_kernel
	.section	.text._ZN9rocsparseL12csrsv_kernelILj1024ELj64ELb0EiifEEvT3_NS_24const_host_device_scalarIT4_EEPKT2_PKS1_PKS3_SB_lPS3_PiS9_iPS1_21rocsparse_index_base_20rocsparse_fill_mode_20rocsparse_diag_type_b,"axG",@progbits,_ZN9rocsparseL12csrsv_kernelILj1024ELj64ELb0EiifEEvT3_NS_24const_host_device_scalarIT4_EEPKT2_PKS1_PKS3_SB_lPS3_PiS9_iPS1_21rocsparse_index_base_20rocsparse_fill_mode_20rocsparse_diag_type_b,comdat
.Lfunc_end2:
	.size	_ZN9rocsparseL12csrsv_kernelILj1024ELj64ELb0EiifEEvT3_NS_24const_host_device_scalarIT4_EEPKT2_PKS1_PKS3_SB_lPS3_PiS9_iPS1_21rocsparse_index_base_20rocsparse_fill_mode_20rocsparse_diag_type_b, .Lfunc_end2-_ZN9rocsparseL12csrsv_kernelILj1024ELj64ELb0EiifEEvT3_NS_24const_host_device_scalarIT4_EEPKT2_PKS1_PKS3_SB_lPS3_PiS9_iPS1_21rocsparse_index_base_20rocsparse_fill_mode_20rocsparse_diag_type_b
                                        ; -- End function
	.section	.AMDGPU.csdata,"",@progbits
; Kernel info:
; codeLenInByte = 1344
; NumSgprs: 43
; NumVgprs: 13
; NumAgprs: 0
; TotalNumVgprs: 13
; ScratchSize: 0
; MemoryBound: 0
; FloatMode: 240
; IeeeMode: 1
; LDSByteSize: 64 bytes/workgroup (compile time only)
; SGPRBlocks: 5
; VGPRBlocks: 1
; NumSGPRsForWavesPerEU: 43
; NumVGPRsForWavesPerEU: 13
; AccumOffset: 16
; Occupancy: 8
; WaveLimiterHint : 1
; COMPUTE_PGM_RSRC2:SCRATCH_EN: 0
; COMPUTE_PGM_RSRC2:USER_SGPR: 6
; COMPUTE_PGM_RSRC2:TRAP_HANDLER: 0
; COMPUTE_PGM_RSRC2:TGID_X_EN: 1
; COMPUTE_PGM_RSRC2:TGID_Y_EN: 0
; COMPUTE_PGM_RSRC2:TGID_Z_EN: 0
; COMPUTE_PGM_RSRC2:TIDIG_COMP_CNT: 0
; COMPUTE_PGM_RSRC3_GFX90A:ACCUM_OFFSET: 3
; COMPUTE_PGM_RSRC3_GFX90A:TG_SPLIT: 0
	.section	.text._ZN9rocsparseL12csrsv_kernelILj1024ELj64ELb1EiidEEvT3_NS_24const_host_device_scalarIT4_EEPKT2_PKS1_PKS3_SB_lPS3_PiS9_iPS1_21rocsparse_index_base_20rocsparse_fill_mode_20rocsparse_diag_type_b,"axG",@progbits,_ZN9rocsparseL12csrsv_kernelILj1024ELj64ELb1EiidEEvT3_NS_24const_host_device_scalarIT4_EEPKT2_PKS1_PKS3_SB_lPS3_PiS9_iPS1_21rocsparse_index_base_20rocsparse_fill_mode_20rocsparse_diag_type_b,comdat
	.globl	_ZN9rocsparseL12csrsv_kernelILj1024ELj64ELb1EiidEEvT3_NS_24const_host_device_scalarIT4_EEPKT2_PKS1_PKS3_SB_lPS3_PiS9_iPS1_21rocsparse_index_base_20rocsparse_fill_mode_20rocsparse_diag_type_b ; -- Begin function _ZN9rocsparseL12csrsv_kernelILj1024ELj64ELb1EiidEEvT3_NS_24const_host_device_scalarIT4_EEPKT2_PKS1_PKS3_SB_lPS3_PiS9_iPS1_21rocsparse_index_base_20rocsparse_fill_mode_20rocsparse_diag_type_b
	.p2align	8
	.type	_ZN9rocsparseL12csrsv_kernelILj1024ELj64ELb1EiidEEvT3_NS_24const_host_device_scalarIT4_EEPKT2_PKS1_PKS3_SB_lPS3_PiS9_iPS1_21rocsparse_index_base_20rocsparse_fill_mode_20rocsparse_diag_type_b,@function
_ZN9rocsparseL12csrsv_kernelILj1024ELj64ELb1EiidEEvT3_NS_24const_host_device_scalarIT4_EEPKT2_PKS1_PKS3_SB_lPS3_PiS9_iPS1_21rocsparse_index_base_20rocsparse_fill_mode_20rocsparse_diag_type_b: ; @_ZN9rocsparseL12csrsv_kernelILj1024ELj64ELb1EiidEEvT3_NS_24const_host_device_scalarIT4_EEPKT2_PKS1_PKS3_SB_lPS3_PiS9_iPS1_21rocsparse_index_base_20rocsparse_fill_mode_20rocsparse_diag_type_b
; %bb.0:
	s_load_dwordx4 s[8:11], s[4:5], 0x60
	s_load_dwordx2 s[0:1], s[4:5], 0x8
	s_waitcnt lgkmcnt(0)
	s_bitcmp1_b32 s11, 0
	s_cselect_b64 s[2:3], -1, 0
	s_and_b64 vcc, exec, s[2:3]
	v_pk_mov_b32 v[4:5], s[0:1], s[0:1] op_sel:[0,1]
	s_cbranch_vccnz .LBB3_2
; %bb.1:
	v_pk_mov_b32 v[2:3], s[0:1], s[0:1] op_sel:[0,1]
	flat_load_dwordx2 v[4:5], v[2:3]
.LBB3_2:
	s_load_dword s1, s[4:5], 0x0
	v_lshrrev_b32_e32 v1, 6, v0
	v_readfirstlane_b32 s11, v1
	s_lshl_b32 s0, s6, 4
	s_add_i32 s0, s11, s0
	s_waitcnt lgkmcnt(0)
	s_cmp_ge_i32 s0, s1
	s_cbranch_scc1 .LBB3_48
; %bb.3:
	s_load_dword s1, s[4:5], 0x50
	s_load_dwordx2 s[2:3], s[4:5], 0x48
	v_and_b32_e32 v10, 63, v0
	v_cmp_eq_u32_e32 vcc, 0, v10
	v_pk_mov_b32 v[2:3], 0, 0
	s_waitcnt lgkmcnt(0)
	s_add_i32 s0, s0, s1
	s_ashr_i32 s1, s0, 31
	s_lshl_b64 s[0:1], s[0:1], 2
	s_add_u32 s0, s2, s0
	s_addc_u32 s1, s3, s1
	s_load_dword s6, s[0:1], 0x0
	s_load_dwordx2 s[2:3], s[4:5], 0x10
	s_load_dwordx4 s[12:15], s[4:5], 0x38
	s_waitcnt lgkmcnt(0)
	s_ashr_i32 s7, s6, 31
	s_lshl_b64 s[20:21], s[6:7], 2
	s_add_u32 s0, s2, s20
	s_addc_u32 s1, s3, s21
	s_load_dwordx2 s[0:1], s[0:1], 0x0
	s_and_saveexec_b64 s[2:3], vcc
	s_cbranch_execz .LBB3_5
; %bb.4:
	s_load_dwordx4 s[16:19], s[4:5], 0x28
	s_waitcnt lgkmcnt(0)
	s_mul_i32 s19, s6, s19
	s_mul_hi_u32 s22, s6, s18
	s_mul_i32 s23, s7, s18
	s_add_i32 s19, s22, s19
	s_add_i32 s19, s19, s23
	s_mul_i32 s18, s6, s18
	s_lshl_b64 s[18:19], s[18:19], 3
	s_add_u32 s16, s16, s18
	s_addc_u32 s17, s17, s19
	s_load_dwordx2 s[16:17], s[16:17], 0x0
	s_waitcnt vmcnt(0) lgkmcnt(0)
	v_mul_f64 v[2:3], v[4:5], s[16:17]
.LBB3_5:
	s_or_b64 exec, exec, s[2:3]
	v_subrev_u32_e32 v0, s8, v10
	s_waitcnt lgkmcnt(0)
	s_sub_i32 s33, s1, s8
	v_add_u32_e32 v0, s0, v0
	v_cmp_gt_i32_e32 vcc, s33, v0
	s_and_saveexec_b64 s[22:23], vcc
	s_cbranch_execz .LBB3_45
; %bb.6:
	s_load_dwordx2 s[24:25], s[4:5], 0x58
	s_load_dwordx4 s[16:19], s[4:5], 0x18
	s_cmp_eq_u32 s10, 0
	s_cselect_b64 s[26:27], -1, 0
	v_cndmask_b32_e64 v1, 0, 1, s[26:27]
	s_add_i32 s38, s6, s8
	s_lshl_b32 s39, s11, 3
	s_mov_b64 s[28:29], 0
	s_waitcnt lgkmcnt(0)
	v_mov_b32_e32 v11, s17
	v_mov_b32_e32 v12, s19
	;; [unrolled: 1-line block ×3, first 2 shown]
	v_cmp_ne_u32_e64 s[0:1], 1, v1
	s_branch .LBB3_8
.LBB3_7:                                ;   in Loop: Header=BB3_8 Depth=1
	s_or_b64 exec, exec, s[30:31]
	s_and_b64 s[2:3], exec, s[2:3]
	s_or_b64 s[28:29], s[2:3], s[28:29]
	v_pk_mov_b32 v[2:3], v[8:9], v[8:9] op_sel:[0,1]
	s_andn2_b64 exec, exec, s[28:29]
	s_cbranch_execz .LBB3_44
.LBB3_8:                                ; =>This Loop Header: Depth=1
                                        ;     Child Loop BB3_34 Depth 2
                                        ;       Child Loop BB3_35 Depth 3
	v_ashrrev_i32_e32 v1, 31, v0
	s_waitcnt vmcnt(0)
	v_lshlrev_b64 v[4:5], 2, v[0:1]
	v_add_co_u32_e32 v4, vcc, s16, v4
	v_addc_co_u32_e32 v5, vcc, v11, v5, vcc
	global_load_dword v6, v[4:5], off glc slc
	v_lshlrev_b64 v[4:5], 3, v[0:1]
	v_add_co_u32_e32 v4, vcc, s18, v4
	v_addc_co_u32_e32 v5, vcc, v12, v5, vcc
	global_load_dwordx2 v[4:5], v[4:5], off glc slc
	s_waitcnt vmcnt(1)
	v_subrev_u32_e32 v6, s8, v6
	v_cmp_eq_u32_e32 vcc, s6, v6
	s_and_b64 s[4:5], s[26:27], vcc
	s_waitcnt vmcnt(0)
	v_cmp_eq_f64_e64 s[2:3], 0, v[4:5]
	s_and_b64 s[2:3], s[2:3], s[4:5]
	s_and_saveexec_b64 s[4:5], s[2:3]
	s_cbranch_execz .LBB3_12
; %bb.9:                                ;   in Loop: Header=BB3_8 Depth=1
	v_mbcnt_lo_u32_b32 v1, exec_lo, 0
	v_mbcnt_hi_u32_b32 v1, exec_hi, v1
	v_cmp_eq_u32_e64 s[2:3], 0, v1
	s_and_saveexec_b64 s[30:31], s[2:3]
	s_cbranch_execz .LBB3_11
; %bb.10:                               ;   in Loop: Header=BB3_8 Depth=1
	v_mov_b32_e32 v1, s38
	global_atomic_smin v13, v1, s[24:25]
.LBB3_11:                               ;   in Loop: Header=BB3_8 Depth=1
	s_or_b64 exec, exec, s[30:31]
	v_mov_b32_e32 v4, 0
	v_mov_b32_e32 v5, 0x3ff00000
.LBB3_12:                               ;   in Loop: Header=BB3_8 Depth=1
	s_or_b64 exec, exec, s[4:5]
	v_cmp_ne_u32_e64 s[2:3], s6, v6
	s_cmp_lt_i32 s9, 1
	s_mov_b64 s[30:31], 0
	s_cbranch_scc1 .LBB3_21
; %bb.13:                               ;   in Loop: Header=BB3_8 Depth=1
	s_cmp_eq_u32 s9, 1
	s_cbranch_scc0 .LBB3_22
; %bb.14:                               ;   in Loop: Header=BB3_8 Depth=1
	v_cmp_le_i32_e64 s[4:5], s6, v6
	s_mov_b64 s[34:35], 0
	s_and_saveexec_b64 s[36:37], s[4:5]
	s_cbranch_execz .LBB3_20
; %bb.15:                               ;   in Loop: Header=BB3_8 Depth=1
	s_mov_b64 s[34:35], -1
	s_and_saveexec_b64 s[4:5], vcc
	s_xor_b64 s[4:5], exec, s[4:5]
	s_cbranch_execz .LBB3_19
; %bb.16:                               ;   in Loop: Header=BB3_8 Depth=1
	s_and_b64 vcc, exec, s[0:1]
	s_cbranch_vccnz .LBB3_18
; %bb.17:                               ;   in Loop: Header=BB3_8 Depth=1
	v_div_scale_f64 v[8:9], s[34:35], v[4:5], v[4:5], 1.0
	v_rcp_f64_e32 v[14:15], v[8:9]
	v_div_scale_f64 v[16:17], vcc, 1.0, v[4:5], 1.0
	v_mov_b32_e32 v1, s39
	v_fma_f64 v[18:19], -v[8:9], v[14:15], 1.0
	v_fmac_f64_e32 v[14:15], v[14:15], v[18:19]
	v_fma_f64 v[18:19], -v[8:9], v[14:15], 1.0
	v_fmac_f64_e32 v[14:15], v[14:15], v[18:19]
	v_mul_f64 v[18:19], v[16:17], v[14:15]
	v_fma_f64 v[8:9], -v[8:9], v[18:19], v[16:17]
	v_div_fmas_f64 v[8:9], v[8:9], v[14:15], v[18:19]
	v_div_fixup_f64 v[8:9], v[8:9], v[4:5], 1.0
	ds_write_b64 v1, v[8:9]
.LBB3_18:                               ;   in Loop: Header=BB3_8 Depth=1
	s_xor_b64 s[34:35], exec, -1
.LBB3_19:                               ;   in Loop: Header=BB3_8 Depth=1
	s_or_b64 exec, exec, s[4:5]
	s_and_b64 s[34:35], s[34:35], exec
.LBB3_20:                               ;   in Loop: Header=BB3_8 Depth=1
	s_or_b64 exec, exec, s[36:37]
	s_mov_b32 s17, 4
	v_pk_mov_b32 v[8:9], v[2:3], v[2:3] op_sel:[0,1]
	s_branch .LBB3_23
.LBB3_21:                               ;   in Loop: Header=BB3_8 Depth=1
	s_mov_b64 s[34:35], 0
                                        ; implicit-def: $sgpr17
                                        ; implicit-def: $vgpr8_vgpr9
	s_cbranch_execnz .LBB3_24
	s_branch .LBB3_26
.LBB3_22:                               ;   in Loop: Header=BB3_8 Depth=1
	s_mov_b64 s[34:35], -1
                                        ; implicit-def: $sgpr17
                                        ; implicit-def: $vgpr8_vgpr9
.LBB3_23:                               ;   in Loop: Header=BB3_8 Depth=1
	s_branch .LBB3_26
.LBB3_24:                               ;   in Loop: Header=BB3_8 Depth=1
	s_cmp_eq_u32 s9, 0
	s_cbranch_scc1 .LBB3_28
; %bb.25:                               ;   in Loop: Header=BB3_8 Depth=1
	s_mov_b64 s[34:35], -1
                                        ; implicit-def: $sgpr17
                                        ; implicit-def: $vgpr8_vgpr9
.LBB3_26:                               ;   in Loop: Header=BB3_8 Depth=1
	v_mov_b32_e32 v1, s17
	s_and_saveexec_b64 s[2:3], s[34:35]
	s_cbranch_execnz .LBB3_31
.LBB3_27:                               ;   in Loop: Header=BB3_8 Depth=1
	s_or_b64 exec, exec, s[2:3]
	s_and_saveexec_b64 s[2:3], s[30:31]
	s_cbranch_execnz .LBB3_37
	s_branch .LBB3_40
.LBB3_28:                               ;   in Loop: Header=BB3_8 Depth=1
	v_cmp_ge_i32_e32 vcc, s6, v6
	s_mov_b64 s[34:35], 0
	s_and_saveexec_b64 s[4:5], vcc
; %bb.29:                               ;   in Loop: Header=BB3_8 Depth=1
	s_mov_b64 s[30:31], exec
	s_and_b64 s[34:35], s[2:3], exec
; %bb.30:                               ;   in Loop: Header=BB3_8 Depth=1
	s_or_b64 exec, exec, s[4:5]
	s_mov_b32 s17, 2
	v_pk_mov_b32 v[8:9], v[2:3], v[2:3] op_sel:[0,1]
	v_mov_b32_e32 v1, s17
	s_and_saveexec_b64 s[2:3], s[34:35]
	s_cbranch_execz .LBB3_27
.LBB3_31:                               ;   in Loop: Header=BB3_8 Depth=1
	v_ashrrev_i32_e32 v7, 31, v6
	v_lshlrev_b64 v[8:9], 2, v[6:7]
	v_mov_b32_e32 v1, s15
	v_add_co_u32_e32 v8, vcc, s14, v8
	v_addc_co_u32_e32 v9, vcc, v1, v9, vcc
	global_load_dword v1, v[8:9], off glc
	s_waitcnt vmcnt(0)
	v_cmp_eq_u32_e32 vcc, 0, v1
	s_and_saveexec_b64 s[4:5], vcc
	s_cbranch_execz .LBB3_36
; %bb.32:                               ;   in Loop: Header=BB3_8 Depth=1
	s_mov_b32 s17, 0
	s_mov_b64 s[34:35], 0
	s_branch .LBB3_34
.LBB3_33:                               ;   in Loop: Header=BB3_34 Depth=2
	global_load_dword v1, v[8:9], off glc
	s_cmpk_lt_u32 s17, 0xf43
	s_cselect_b64 s[36:37], -1, 0
	s_cmp_lg_u64 s[36:37], 0
	s_addc_u32 s17, s17, 0
	s_waitcnt vmcnt(0)
	v_cmp_ne_u32_e32 vcc, 0, v1
	s_or_b64 s[34:35], vcc, s[34:35]
	s_andn2_b64 exec, exec, s[34:35]
	s_cbranch_execz .LBB3_36
.LBB3_34:                               ;   Parent Loop BB3_8 Depth=1
                                        ; =>  This Loop Header: Depth=2
                                        ;       Child Loop BB3_35 Depth 3
	s_cmp_eq_u32 s17, 0
	s_mov_b32 s19, s17
	s_cbranch_scc1 .LBB3_33
.LBB3_35:                               ;   Parent Loop BB3_8 Depth=1
                                        ;     Parent Loop BB3_34 Depth=2
                                        ; =>    This Inner Loop Header: Depth=3
	s_add_i32 s19, s19, -1
	s_cmp_eq_u32 s19, 0
	s_sleep 1
	s_cbranch_scc0 .LBB3_35
	s_branch .LBB3_33
.LBB3_36:                               ;   in Loop: Header=BB3_8 Depth=1
	s_or_b64 exec, exec, s[4:5]
	v_lshlrev_b64 v[6:7], 3, v[6:7]
	v_mov_b32_e32 v1, s13
	v_add_co_u32_e32 v6, vcc, s12, v6
	v_addc_co_u32_e32 v7, vcc, v1, v7, vcc
	s_waitcnt lgkmcnt(0)
	buffer_wbinvl1_vol
	global_load_dwordx2 v[6:7], v[6:7], off
	v_mov_b32_e32 v1, 0
	s_andn2_b64 s[30:31], s[30:31], exec
	s_waitcnt vmcnt(0)
	v_fma_f64 v[8:9], -v[4:5], v[6:7], v[2:3]
	s_or_b64 exec, exec, s[2:3]
	s_and_saveexec_b64 s[2:3], s[30:31]
	s_cbranch_execz .LBB3_40
.LBB3_37:                               ;   in Loop: Header=BB3_8 Depth=1
	s_and_b64 vcc, exec, s[0:1]
	s_cbranch_vccnz .LBB3_39
; %bb.38:                               ;   in Loop: Header=BB3_8 Depth=1
	v_div_scale_f64 v[6:7], s[4:5], v[4:5], v[4:5], 1.0
	v_rcp_f64_e32 v[8:9], v[6:7]
	v_div_scale_f64 v[14:15], vcc, 1.0, v[4:5], 1.0
	v_mov_b32_e32 v1, s39
	v_fma_f64 v[16:17], -v[6:7], v[8:9], 1.0
	v_fmac_f64_e32 v[8:9], v[8:9], v[16:17]
	v_fma_f64 v[16:17], -v[6:7], v[8:9], 1.0
	v_fmac_f64_e32 v[8:9], v[8:9], v[16:17]
	v_mul_f64 v[16:17], v[14:15], v[8:9]
	v_fma_f64 v[6:7], -v[6:7], v[16:17], v[14:15]
	v_div_fmas_f64 v[6:7], v[6:7], v[8:9], v[16:17]
	v_div_fixup_f64 v[4:5], v[6:7], v[4:5], 1.0
	ds_write_b64 v1, v[4:5]
.LBB3_39:                               ;   in Loop: Header=BB3_8 Depth=1
	v_mov_b32_e32 v1, 2
	v_pk_mov_b32 v[8:9], v[2:3], v[2:3] op_sel:[0,1]
.LBB3_40:                               ;   in Loop: Header=BB3_8 Depth=1
	s_or_b64 exec, exec, s[2:3]
	v_cmp_gt_i32_e32 vcc, 4, v1
	s_mov_b64 s[2:3], -1
	s_mov_b64 s[4:5], -1
	s_and_saveexec_b64 s[30:31], vcc
; %bb.41:                               ;   in Loop: Header=BB3_8 Depth=1
	v_cmp_eq_u32_e32 vcc, 0, v1
	s_orn2_b64 s[4:5], vcc, exec
; %bb.42:                               ;   in Loop: Header=BB3_8 Depth=1
	s_or_b64 exec, exec, s[30:31]
	s_and_saveexec_b64 s[30:31], s[4:5]
	s_cbranch_execz .LBB3_7
; %bb.43:                               ;   in Loop: Header=BB3_8 Depth=1
	v_add_u32_e32 v0, 64, v0
	v_cmp_le_i32_e32 vcc, s33, v0
	s_orn2_b64 s[2:3], vcc, exec
	s_branch .LBB3_7
.LBB3_44:
	s_or_b64 exec, exec, s[28:29]
	v_pk_mov_b32 v[2:3], v[8:9], v[8:9] op_sel:[0,1]
.LBB3_45:
	s_or_b64 exec, exec, s[22:23]
	s_nop 0
	v_mov_b32_dpp v0, v2 row_shr:1 row_mask:0xf bank_mask:0xf
	v_mov_b32_dpp v1, v3 row_shr:1 row_mask:0xf bank_mask:0xf
	v_add_f64 v[0:1], v[2:3], v[0:1]
	s_cmp_lg_u32 s10, 0
	s_nop 0
	v_mov_b32_dpp v2, v0 row_shr:2 row_mask:0xf bank_mask:0xf
	v_mov_b32_dpp v3, v1 row_shr:2 row_mask:0xf bank_mask:0xf
	v_add_f64 v[0:1], v[0:1], v[2:3]
	s_nop 1
	v_mov_b32_dpp v2, v0 row_shr:4 row_mask:0xf bank_mask:0xe
	v_mov_b32_dpp v3, v1 row_shr:4 row_mask:0xf bank_mask:0xe
	v_add_f64 v[0:1], v[0:1], v[2:3]
	;; [unrolled: 4-line block ×3, first 2 shown]
	s_nop 1
	v_mov_b32_dpp v2, v0 row_bcast:15 row_mask:0xa bank_mask:0xf
	v_mov_b32_dpp v3, v1 row_bcast:15 row_mask:0xa bank_mask:0xf
	v_add_f64 v[0:1], v[0:1], v[2:3]
	s_nop 1
	v_mov_b32_dpp v2, v0 row_bcast:31 row_mask:0xc bank_mask:0xf
	v_mov_b32_dpp v3, v1 row_bcast:31 row_mask:0xc bank_mask:0xf
	v_add_f64 v[0:1], v[0:1], v[2:3]
	s_cbranch_scc0 .LBB3_49
; %bb.46:
	v_cmp_eq_u32_e32 vcc, 63, v10
	s_and_saveexec_b64 s[0:1], vcc
	s_cbranch_execz .LBB3_48
.LBB3_47:
	s_lshl_b64 s[0:1], s[6:7], 3
	s_add_u32 s0, s12, s0
	s_addc_u32 s1, s13, s1
	v_mov_b32_e32 v2, 0
	s_add_u32 s2, s14, s20
	s_addc_u32 s3, s15, s21
	global_store_dwordx2 v2, v[0:1], s[0:1] glc slc
	v_mov_b32_e32 v0, 1
	s_waitcnt vmcnt(0)
	global_store_dword v2, v0, s[2:3]
.LBB3_48:
	s_endpgm
.LBB3_49:
	s_lshl_b32 s0, s11, 3
	v_mov_b32_e32 v2, s0
	s_waitcnt lgkmcnt(0)
	ds_read_b64 v[2:3], v2
	s_waitcnt lgkmcnt(0)
	v_mul_f64 v[0:1], v[0:1], v[2:3]
	v_cmp_eq_u32_e32 vcc, 63, v10
	s_and_saveexec_b64 s[0:1], vcc
	s_cbranch_execnz .LBB3_47
	s_branch .LBB3_48
	.section	.rodata,"a",@progbits
	.p2align	6, 0x0
	.amdhsa_kernel _ZN9rocsparseL12csrsv_kernelILj1024ELj64ELb1EiidEEvT3_NS_24const_host_device_scalarIT4_EEPKT2_PKS1_PKS3_SB_lPS3_PiS9_iPS1_21rocsparse_index_base_20rocsparse_fill_mode_20rocsparse_diag_type_b
		.amdhsa_group_segment_fixed_size 128
		.amdhsa_private_segment_fixed_size 0
		.amdhsa_kernarg_size 112
		.amdhsa_user_sgpr_count 6
		.amdhsa_user_sgpr_private_segment_buffer 1
		.amdhsa_user_sgpr_dispatch_ptr 0
		.amdhsa_user_sgpr_queue_ptr 0
		.amdhsa_user_sgpr_kernarg_segment_ptr 1
		.amdhsa_user_sgpr_dispatch_id 0
		.amdhsa_user_sgpr_flat_scratch_init 0
		.amdhsa_user_sgpr_kernarg_preload_length 0
		.amdhsa_user_sgpr_kernarg_preload_offset 0
		.amdhsa_user_sgpr_private_segment_size 0
		.amdhsa_uses_dynamic_stack 0
		.amdhsa_system_sgpr_private_segment_wavefront_offset 0
		.amdhsa_system_sgpr_workgroup_id_x 1
		.amdhsa_system_sgpr_workgroup_id_y 0
		.amdhsa_system_sgpr_workgroup_id_z 0
		.amdhsa_system_sgpr_workgroup_info 0
		.amdhsa_system_vgpr_workitem_id 0
		.amdhsa_next_free_vgpr 20
		.amdhsa_next_free_sgpr 40
		.amdhsa_accum_offset 20
		.amdhsa_reserve_vcc 1
		.amdhsa_reserve_flat_scratch 0
		.amdhsa_float_round_mode_32 0
		.amdhsa_float_round_mode_16_64 0
		.amdhsa_float_denorm_mode_32 3
		.amdhsa_float_denorm_mode_16_64 3
		.amdhsa_dx10_clamp 1
		.amdhsa_ieee_mode 1
		.amdhsa_fp16_overflow 0
		.amdhsa_tg_split 0
		.amdhsa_exception_fp_ieee_invalid_op 0
		.amdhsa_exception_fp_denorm_src 0
		.amdhsa_exception_fp_ieee_div_zero 0
		.amdhsa_exception_fp_ieee_overflow 0
		.amdhsa_exception_fp_ieee_underflow 0
		.amdhsa_exception_fp_ieee_inexact 0
		.amdhsa_exception_int_div_zero 0
	.end_amdhsa_kernel
	.section	.text._ZN9rocsparseL12csrsv_kernelILj1024ELj64ELb1EiidEEvT3_NS_24const_host_device_scalarIT4_EEPKT2_PKS1_PKS3_SB_lPS3_PiS9_iPS1_21rocsparse_index_base_20rocsparse_fill_mode_20rocsparse_diag_type_b,"axG",@progbits,_ZN9rocsparseL12csrsv_kernelILj1024ELj64ELb1EiidEEvT3_NS_24const_host_device_scalarIT4_EEPKT2_PKS1_PKS3_SB_lPS3_PiS9_iPS1_21rocsparse_index_base_20rocsparse_fill_mode_20rocsparse_diag_type_b,comdat
.Lfunc_end3:
	.size	_ZN9rocsparseL12csrsv_kernelILj1024ELj64ELb1EiidEEvT3_NS_24const_host_device_scalarIT4_EEPKT2_PKS1_PKS3_SB_lPS3_PiS9_iPS1_21rocsparse_index_base_20rocsparse_fill_mode_20rocsparse_diag_type_b, .Lfunc_end3-_ZN9rocsparseL12csrsv_kernelILj1024ELj64ELb1EiidEEvT3_NS_24const_host_device_scalarIT4_EEPKT2_PKS1_PKS3_SB_lPS3_PiS9_iPS1_21rocsparse_index_base_20rocsparse_fill_mode_20rocsparse_diag_type_b
                                        ; -- End function
	.section	.AMDGPU.csdata,"",@progbits
; Kernel info:
; codeLenInByte = 1552
; NumSgprs: 44
; NumVgprs: 20
; NumAgprs: 0
; TotalNumVgprs: 20
; ScratchSize: 0
; MemoryBound: 0
; FloatMode: 240
; IeeeMode: 1
; LDSByteSize: 128 bytes/workgroup (compile time only)
; SGPRBlocks: 5
; VGPRBlocks: 2
; NumSGPRsForWavesPerEU: 44
; NumVGPRsForWavesPerEU: 20
; AccumOffset: 20
; Occupancy: 8
; WaveLimiterHint : 1
; COMPUTE_PGM_RSRC2:SCRATCH_EN: 0
; COMPUTE_PGM_RSRC2:USER_SGPR: 6
; COMPUTE_PGM_RSRC2:TRAP_HANDLER: 0
; COMPUTE_PGM_RSRC2:TGID_X_EN: 1
; COMPUTE_PGM_RSRC2:TGID_Y_EN: 0
; COMPUTE_PGM_RSRC2:TGID_Z_EN: 0
; COMPUTE_PGM_RSRC2:TIDIG_COMP_CNT: 0
; COMPUTE_PGM_RSRC3_GFX90A:ACCUM_OFFSET: 4
; COMPUTE_PGM_RSRC3_GFX90A:TG_SPLIT: 0
	.section	.text._ZN9rocsparseL12csrsv_kernelILj1024ELj32ELb0EiidEEvT3_NS_24const_host_device_scalarIT4_EEPKT2_PKS1_PKS3_SB_lPS3_PiS9_iPS1_21rocsparse_index_base_20rocsparse_fill_mode_20rocsparse_diag_type_b,"axG",@progbits,_ZN9rocsparseL12csrsv_kernelILj1024ELj32ELb0EiidEEvT3_NS_24const_host_device_scalarIT4_EEPKT2_PKS1_PKS3_SB_lPS3_PiS9_iPS1_21rocsparse_index_base_20rocsparse_fill_mode_20rocsparse_diag_type_b,comdat
	.globl	_ZN9rocsparseL12csrsv_kernelILj1024ELj32ELb0EiidEEvT3_NS_24const_host_device_scalarIT4_EEPKT2_PKS1_PKS3_SB_lPS3_PiS9_iPS1_21rocsparse_index_base_20rocsparse_fill_mode_20rocsparse_diag_type_b ; -- Begin function _ZN9rocsparseL12csrsv_kernelILj1024ELj32ELb0EiidEEvT3_NS_24const_host_device_scalarIT4_EEPKT2_PKS1_PKS3_SB_lPS3_PiS9_iPS1_21rocsparse_index_base_20rocsparse_fill_mode_20rocsparse_diag_type_b
	.p2align	8
	.type	_ZN9rocsparseL12csrsv_kernelILj1024ELj32ELb0EiidEEvT3_NS_24const_host_device_scalarIT4_EEPKT2_PKS1_PKS3_SB_lPS3_PiS9_iPS1_21rocsparse_index_base_20rocsparse_fill_mode_20rocsparse_diag_type_b,@function
_ZN9rocsparseL12csrsv_kernelILj1024ELj32ELb0EiidEEvT3_NS_24const_host_device_scalarIT4_EEPKT2_PKS1_PKS3_SB_lPS3_PiS9_iPS1_21rocsparse_index_base_20rocsparse_fill_mode_20rocsparse_diag_type_b: ; @_ZN9rocsparseL12csrsv_kernelILj1024ELj32ELb0EiidEEvT3_NS_24const_host_device_scalarIT4_EEPKT2_PKS1_PKS3_SB_lPS3_PiS9_iPS1_21rocsparse_index_base_20rocsparse_fill_mode_20rocsparse_diag_type_b
; %bb.0:
	s_load_dwordx4 s[8:11], s[4:5], 0x60
	s_load_dwordx2 s[0:1], s[4:5], 0x8
	s_waitcnt lgkmcnt(0)
	s_bitcmp1_b32 s11, 0
	s_cselect_b64 s[2:3], -1, 0
	s_and_b64 vcc, exec, s[2:3]
	v_pk_mov_b32 v[4:5], s[0:1], s[0:1] op_sel:[0,1]
	s_cbranch_vccnz .LBB4_2
; %bb.1:
	v_pk_mov_b32 v[2:3], s[0:1], s[0:1] op_sel:[0,1]
	flat_load_dwordx2 v[4:5], v[2:3]
.LBB4_2:
	s_load_dword s1, s[4:5], 0x0
	v_lshrrev_b32_e32 v1, 5, v0
	v_readfirstlane_b32 s11, v1
	s_lshl_b32 s0, s6, 5
	s_add_i32 s0, s11, s0
	s_waitcnt lgkmcnt(0)
	s_cmp_ge_i32 s0, s1
	s_cbranch_scc1 .LBB4_46
; %bb.3:
	s_load_dword s1, s[4:5], 0x50
	s_load_dwordx2 s[2:3], s[4:5], 0x48
	v_and_b32_e32 v10, 31, v0
	v_cmp_eq_u32_e32 vcc, 0, v10
	v_pk_mov_b32 v[2:3], 0, 0
	s_waitcnt lgkmcnt(0)
	s_add_i32 s0, s0, s1
	s_ashr_i32 s1, s0, 31
	s_lshl_b64 s[0:1], s[0:1], 2
	s_add_u32 s0, s2, s0
	s_addc_u32 s1, s3, s1
	s_load_dword s6, s[0:1], 0x0
	s_load_dwordx2 s[2:3], s[4:5], 0x10
	s_load_dwordx4 s[12:15], s[4:5], 0x38
	s_waitcnt lgkmcnt(0)
	s_ashr_i32 s7, s6, 31
	s_lshl_b64 s[20:21], s[6:7], 2
	s_add_u32 s0, s2, s20
	s_addc_u32 s1, s3, s21
	s_load_dwordx2 s[0:1], s[0:1], 0x0
	s_and_saveexec_b64 s[2:3], vcc
	s_cbranch_execz .LBB4_5
; %bb.4:
	s_load_dwordx4 s[16:19], s[4:5], 0x28
	s_waitcnt lgkmcnt(0)
	s_mul_i32 s19, s6, s19
	s_mul_hi_u32 s22, s6, s18
	s_mul_i32 s23, s7, s18
	s_add_i32 s19, s22, s19
	s_add_i32 s19, s19, s23
	s_mul_i32 s18, s6, s18
	s_lshl_b64 s[18:19], s[18:19], 3
	s_add_u32 s16, s16, s18
	s_addc_u32 s17, s17, s19
	s_load_dwordx2 s[16:17], s[16:17], 0x0
	s_waitcnt vmcnt(0) lgkmcnt(0)
	v_mul_f64 v[2:3], v[4:5], s[16:17]
.LBB4_5:
	s_or_b64 exec, exec, s[2:3]
	v_subrev_u32_e32 v0, s8, v10
	s_waitcnt lgkmcnt(0)
	s_sub_i32 s33, s1, s8
	v_add_u32_e32 v0, s0, v0
	v_cmp_gt_i32_e32 vcc, s33, v0
	s_and_saveexec_b64 s[22:23], vcc
	s_cbranch_execz .LBB4_43
; %bb.6:
	s_load_dwordx2 s[24:25], s[4:5], 0x58
	s_load_dwordx4 s[16:19], s[4:5], 0x18
	s_cmp_eq_u32 s10, 0
	s_cselect_b64 s[26:27], -1, 0
	v_cndmask_b32_e64 v1, 0, 1, s[26:27]
	s_add_i32 s38, s6, s8
	s_lshl_b32 s39, s11, 3
	s_mov_b64 s[28:29], 0
	s_waitcnt lgkmcnt(0)
	v_mov_b32_e32 v11, s17
	v_mov_b32_e32 v12, s19
	;; [unrolled: 1-line block ×3, first 2 shown]
	v_cmp_ne_u32_e64 s[0:1], 1, v1
	s_branch .LBB4_8
.LBB4_7:                                ;   in Loop: Header=BB4_8 Depth=1
	s_or_b64 exec, exec, s[30:31]
	s_and_b64 s[2:3], exec, s[2:3]
	s_or_b64 s[28:29], s[2:3], s[28:29]
	v_pk_mov_b32 v[2:3], v[8:9], v[8:9] op_sel:[0,1]
	s_andn2_b64 exec, exec, s[28:29]
	s_cbranch_execz .LBB4_42
.LBB4_8:                                ; =>This Loop Header: Depth=1
                                        ;     Child Loop BB4_33 Depth 2
	v_ashrrev_i32_e32 v1, 31, v0
	s_waitcnt vmcnt(0)
	v_lshlrev_b64 v[4:5], 2, v[0:1]
	v_add_co_u32_e32 v4, vcc, s16, v4
	v_addc_co_u32_e32 v5, vcc, v11, v5, vcc
	global_load_dword v6, v[4:5], off glc slc
	v_lshlrev_b64 v[4:5], 3, v[0:1]
	v_add_co_u32_e32 v4, vcc, s18, v4
	v_addc_co_u32_e32 v5, vcc, v12, v5, vcc
	global_load_dwordx2 v[4:5], v[4:5], off glc slc
	s_waitcnt vmcnt(1)
	v_subrev_u32_e32 v6, s8, v6
	v_cmp_eq_u32_e32 vcc, s6, v6
	s_and_b64 s[4:5], s[26:27], vcc
	s_waitcnt vmcnt(0)
	v_cmp_eq_f64_e64 s[2:3], 0, v[4:5]
	s_and_b64 s[2:3], s[2:3], s[4:5]
	s_and_saveexec_b64 s[4:5], s[2:3]
	s_cbranch_execz .LBB4_12
; %bb.9:                                ;   in Loop: Header=BB4_8 Depth=1
	v_mbcnt_lo_u32_b32 v1, exec_lo, 0
	v_mbcnt_hi_u32_b32 v1, exec_hi, v1
	v_cmp_eq_u32_e64 s[2:3], 0, v1
	s_and_saveexec_b64 s[30:31], s[2:3]
	s_cbranch_execz .LBB4_11
; %bb.10:                               ;   in Loop: Header=BB4_8 Depth=1
	v_mov_b32_e32 v1, s38
	global_atomic_smin v13, v1, s[24:25]
.LBB4_11:                               ;   in Loop: Header=BB4_8 Depth=1
	s_or_b64 exec, exec, s[30:31]
	v_mov_b32_e32 v4, 0
	v_mov_b32_e32 v5, 0x3ff00000
.LBB4_12:                               ;   in Loop: Header=BB4_8 Depth=1
	s_or_b64 exec, exec, s[4:5]
	v_cmp_ne_u32_e64 s[2:3], s6, v6
	s_cmp_lt_i32 s9, 1
	s_mov_b64 s[30:31], 0
	s_cbranch_scc1 .LBB4_21
; %bb.13:                               ;   in Loop: Header=BB4_8 Depth=1
	s_cmp_eq_u32 s9, 1
	s_cbranch_scc0 .LBB4_22
; %bb.14:                               ;   in Loop: Header=BB4_8 Depth=1
	v_cmp_le_i32_e64 s[4:5], s6, v6
	s_mov_b64 s[34:35], 0
	s_and_saveexec_b64 s[36:37], s[4:5]
	s_cbranch_execz .LBB4_20
; %bb.15:                               ;   in Loop: Header=BB4_8 Depth=1
	s_mov_b64 s[34:35], -1
	s_and_saveexec_b64 s[4:5], vcc
	s_xor_b64 s[4:5], exec, s[4:5]
	s_cbranch_execz .LBB4_19
; %bb.16:                               ;   in Loop: Header=BB4_8 Depth=1
	s_and_b64 vcc, exec, s[0:1]
	s_cbranch_vccnz .LBB4_18
; %bb.17:                               ;   in Loop: Header=BB4_8 Depth=1
	v_div_scale_f64 v[8:9], s[34:35], v[4:5], v[4:5], 1.0
	v_rcp_f64_e32 v[14:15], v[8:9]
	v_div_scale_f64 v[16:17], vcc, 1.0, v[4:5], 1.0
	v_mov_b32_e32 v1, s39
	v_fma_f64 v[18:19], -v[8:9], v[14:15], 1.0
	v_fmac_f64_e32 v[14:15], v[14:15], v[18:19]
	v_fma_f64 v[18:19], -v[8:9], v[14:15], 1.0
	v_fmac_f64_e32 v[14:15], v[14:15], v[18:19]
	v_mul_f64 v[18:19], v[16:17], v[14:15]
	v_fma_f64 v[8:9], -v[8:9], v[18:19], v[16:17]
	v_div_fmas_f64 v[8:9], v[8:9], v[14:15], v[18:19]
	v_div_fixup_f64 v[8:9], v[8:9], v[4:5], 1.0
	ds_write_b64 v1, v[8:9]
.LBB4_18:                               ;   in Loop: Header=BB4_8 Depth=1
	s_xor_b64 s[34:35], exec, -1
.LBB4_19:                               ;   in Loop: Header=BB4_8 Depth=1
	s_or_b64 exec, exec, s[4:5]
	s_and_b64 s[34:35], s[34:35], exec
.LBB4_20:                               ;   in Loop: Header=BB4_8 Depth=1
	s_or_b64 exec, exec, s[36:37]
	s_mov_b32 s17, 4
	v_pk_mov_b32 v[8:9], v[2:3], v[2:3] op_sel:[0,1]
	s_branch .LBB4_23
.LBB4_21:                               ;   in Loop: Header=BB4_8 Depth=1
	s_mov_b64 s[34:35], 0
                                        ; implicit-def: $sgpr17
                                        ; implicit-def: $vgpr8_vgpr9
	s_cbranch_execnz .LBB4_24
	s_branch .LBB4_26
.LBB4_22:                               ;   in Loop: Header=BB4_8 Depth=1
	s_mov_b64 s[34:35], -1
                                        ; implicit-def: $sgpr17
                                        ; implicit-def: $vgpr8_vgpr9
.LBB4_23:                               ;   in Loop: Header=BB4_8 Depth=1
	s_branch .LBB4_26
.LBB4_24:                               ;   in Loop: Header=BB4_8 Depth=1
	s_cmp_eq_u32 s9, 0
	s_cbranch_scc1 .LBB4_28
; %bb.25:                               ;   in Loop: Header=BB4_8 Depth=1
	s_mov_b64 s[34:35], -1
                                        ; implicit-def: $sgpr17
                                        ; implicit-def: $vgpr8_vgpr9
.LBB4_26:                               ;   in Loop: Header=BB4_8 Depth=1
	v_mov_b32_e32 v1, s17
	s_and_saveexec_b64 s[2:3], s[34:35]
	s_cbranch_execnz .LBB4_31
.LBB4_27:                               ;   in Loop: Header=BB4_8 Depth=1
	s_or_b64 exec, exec, s[2:3]
	s_and_saveexec_b64 s[2:3], s[30:31]
	s_cbranch_execnz .LBB4_35
	s_branch .LBB4_38
.LBB4_28:                               ;   in Loop: Header=BB4_8 Depth=1
	v_cmp_ge_i32_e32 vcc, s6, v6
	s_mov_b64 s[34:35], 0
	s_and_saveexec_b64 s[4:5], vcc
; %bb.29:                               ;   in Loop: Header=BB4_8 Depth=1
	s_mov_b64 s[30:31], exec
	s_and_b64 s[34:35], s[2:3], exec
; %bb.30:                               ;   in Loop: Header=BB4_8 Depth=1
	s_or_b64 exec, exec, s[4:5]
	s_mov_b32 s17, 2
	v_pk_mov_b32 v[8:9], v[2:3], v[2:3] op_sel:[0,1]
	v_mov_b32_e32 v1, s17
	s_and_saveexec_b64 s[2:3], s[34:35]
	s_cbranch_execz .LBB4_27
.LBB4_31:                               ;   in Loop: Header=BB4_8 Depth=1
	v_ashrrev_i32_e32 v7, 31, v6
	v_lshlrev_b64 v[8:9], 2, v[6:7]
	v_mov_b32_e32 v1, s15
	v_add_co_u32_e32 v8, vcc, s14, v8
	v_addc_co_u32_e32 v9, vcc, v1, v9, vcc
	global_load_dword v1, v[8:9], off glc
	s_waitcnt vmcnt(0)
	v_cmp_eq_u32_e32 vcc, 0, v1
	s_and_saveexec_b64 s[4:5], vcc
	s_cbranch_execz .LBB4_34
; %bb.32:                               ;   in Loop: Header=BB4_8 Depth=1
	s_mov_b64 s[34:35], 0
.LBB4_33:                               ;   Parent Loop BB4_8 Depth=1
                                        ; =>  This Inner Loop Header: Depth=2
	global_load_dword v1, v[8:9], off glc
	s_waitcnt vmcnt(0)
	v_cmp_ne_u32_e32 vcc, 0, v1
	s_or_b64 s[34:35], vcc, s[34:35]
	s_andn2_b64 exec, exec, s[34:35]
	s_cbranch_execnz .LBB4_33
.LBB4_34:                               ;   in Loop: Header=BB4_8 Depth=1
	s_or_b64 exec, exec, s[4:5]
	v_lshlrev_b64 v[6:7], 3, v[6:7]
	v_mov_b32_e32 v1, s13
	v_add_co_u32_e32 v6, vcc, s12, v6
	v_addc_co_u32_e32 v7, vcc, v1, v7, vcc
	s_waitcnt lgkmcnt(0)
	buffer_wbinvl1_vol
	global_load_dwordx2 v[6:7], v[6:7], off
	v_mov_b32_e32 v1, 0
	s_andn2_b64 s[30:31], s[30:31], exec
	s_waitcnt vmcnt(0)
	v_fma_f64 v[8:9], -v[4:5], v[6:7], v[2:3]
	s_or_b64 exec, exec, s[2:3]
	s_and_saveexec_b64 s[2:3], s[30:31]
	s_cbranch_execz .LBB4_38
.LBB4_35:                               ;   in Loop: Header=BB4_8 Depth=1
	s_and_b64 vcc, exec, s[0:1]
	s_cbranch_vccnz .LBB4_37
; %bb.36:                               ;   in Loop: Header=BB4_8 Depth=1
	v_div_scale_f64 v[6:7], s[4:5], v[4:5], v[4:5], 1.0
	v_rcp_f64_e32 v[8:9], v[6:7]
	v_div_scale_f64 v[14:15], vcc, 1.0, v[4:5], 1.0
	v_mov_b32_e32 v1, s39
	v_fma_f64 v[16:17], -v[6:7], v[8:9], 1.0
	v_fmac_f64_e32 v[8:9], v[8:9], v[16:17]
	v_fma_f64 v[16:17], -v[6:7], v[8:9], 1.0
	v_fmac_f64_e32 v[8:9], v[8:9], v[16:17]
	v_mul_f64 v[16:17], v[14:15], v[8:9]
	v_fma_f64 v[6:7], -v[6:7], v[16:17], v[14:15]
	v_div_fmas_f64 v[6:7], v[6:7], v[8:9], v[16:17]
	v_div_fixup_f64 v[4:5], v[6:7], v[4:5], 1.0
	ds_write_b64 v1, v[4:5]
.LBB4_37:                               ;   in Loop: Header=BB4_8 Depth=1
	v_mov_b32_e32 v1, 2
	v_pk_mov_b32 v[8:9], v[2:3], v[2:3] op_sel:[0,1]
.LBB4_38:                               ;   in Loop: Header=BB4_8 Depth=1
	s_or_b64 exec, exec, s[2:3]
	v_cmp_gt_i32_e32 vcc, 4, v1
	s_mov_b64 s[2:3], -1
	s_mov_b64 s[4:5], -1
	s_and_saveexec_b64 s[30:31], vcc
; %bb.39:                               ;   in Loop: Header=BB4_8 Depth=1
	v_cmp_eq_u32_e32 vcc, 0, v1
	s_orn2_b64 s[4:5], vcc, exec
; %bb.40:                               ;   in Loop: Header=BB4_8 Depth=1
	s_or_b64 exec, exec, s[30:31]
	s_and_saveexec_b64 s[30:31], s[4:5]
	s_cbranch_execz .LBB4_7
; %bb.41:                               ;   in Loop: Header=BB4_8 Depth=1
	v_add_u32_e32 v0, 32, v0
	v_cmp_le_i32_e32 vcc, s33, v0
	s_orn2_b64 s[2:3], vcc, exec
	s_branch .LBB4_7
.LBB4_42:
	s_or_b64 exec, exec, s[28:29]
	v_pk_mov_b32 v[2:3], v[8:9], v[8:9] op_sel:[0,1]
.LBB4_43:
	s_or_b64 exec, exec, s[22:23]
	s_nop 0
	v_mov_b32_dpp v0, v2 row_shr:1 row_mask:0xf bank_mask:0xf
	v_mov_b32_dpp v1, v3 row_shr:1 row_mask:0xf bank_mask:0xf
	v_add_f64 v[0:1], v[2:3], v[0:1]
	s_cmp_lg_u32 s10, 0
	s_nop 0
	v_mov_b32_dpp v2, v0 row_shr:2 row_mask:0xf bank_mask:0xf
	v_mov_b32_dpp v3, v1 row_shr:2 row_mask:0xf bank_mask:0xf
	v_add_f64 v[0:1], v[0:1], v[2:3]
	s_nop 1
	v_mov_b32_dpp v2, v0 row_shr:4 row_mask:0xf bank_mask:0xe
	v_mov_b32_dpp v3, v1 row_shr:4 row_mask:0xf bank_mask:0xe
	v_add_f64 v[0:1], v[0:1], v[2:3]
	;; [unrolled: 4-line block ×3, first 2 shown]
	s_nop 1
	v_mov_b32_dpp v2, v0 row_bcast:15 row_mask:0xa bank_mask:0xf
	v_mov_b32_dpp v3, v1 row_bcast:15 row_mask:0xa bank_mask:0xf
	v_add_f64 v[0:1], v[0:1], v[2:3]
	s_cbranch_scc0 .LBB4_47
; %bb.44:
	v_cmp_eq_u32_e32 vcc, 31, v10
	s_and_saveexec_b64 s[0:1], vcc
	s_cbranch_execz .LBB4_46
.LBB4_45:
	s_lshl_b64 s[0:1], s[6:7], 3
	s_add_u32 s0, s12, s0
	s_addc_u32 s1, s13, s1
	v_mov_b32_e32 v2, 0
	s_add_u32 s2, s14, s20
	s_addc_u32 s3, s15, s21
	global_store_dwordx2 v2, v[0:1], s[0:1] glc slc
	v_mov_b32_e32 v0, 1
	s_waitcnt vmcnt(0)
	global_store_dword v2, v0, s[2:3]
.LBB4_46:
	s_endpgm
.LBB4_47:
	s_lshl_b32 s0, s11, 3
	v_mov_b32_e32 v2, s0
	s_waitcnt lgkmcnt(0)
	ds_read_b64 v[2:3], v2
	s_waitcnt lgkmcnt(0)
	v_mul_f64 v[0:1], v[0:1], v[2:3]
	v_cmp_eq_u32_e32 vcc, 31, v10
	s_and_saveexec_b64 s[0:1], vcc
	s_cbranch_execnz .LBB4_45
	s_branch .LBB4_46
	.section	.rodata,"a",@progbits
	.p2align	6, 0x0
	.amdhsa_kernel _ZN9rocsparseL12csrsv_kernelILj1024ELj32ELb0EiidEEvT3_NS_24const_host_device_scalarIT4_EEPKT2_PKS1_PKS3_SB_lPS3_PiS9_iPS1_21rocsparse_index_base_20rocsparse_fill_mode_20rocsparse_diag_type_b
		.amdhsa_group_segment_fixed_size 256
		.amdhsa_private_segment_fixed_size 0
		.amdhsa_kernarg_size 112
		.amdhsa_user_sgpr_count 6
		.amdhsa_user_sgpr_private_segment_buffer 1
		.amdhsa_user_sgpr_dispatch_ptr 0
		.amdhsa_user_sgpr_queue_ptr 0
		.amdhsa_user_sgpr_kernarg_segment_ptr 1
		.amdhsa_user_sgpr_dispatch_id 0
		.amdhsa_user_sgpr_flat_scratch_init 0
		.amdhsa_user_sgpr_kernarg_preload_length 0
		.amdhsa_user_sgpr_kernarg_preload_offset 0
		.amdhsa_user_sgpr_private_segment_size 0
		.amdhsa_uses_dynamic_stack 0
		.amdhsa_system_sgpr_private_segment_wavefront_offset 0
		.amdhsa_system_sgpr_workgroup_id_x 1
		.amdhsa_system_sgpr_workgroup_id_y 0
		.amdhsa_system_sgpr_workgroup_id_z 0
		.amdhsa_system_sgpr_workgroup_info 0
		.amdhsa_system_vgpr_workitem_id 0
		.amdhsa_next_free_vgpr 20
		.amdhsa_next_free_sgpr 40
		.amdhsa_accum_offset 20
		.amdhsa_reserve_vcc 1
		.amdhsa_reserve_flat_scratch 0
		.amdhsa_float_round_mode_32 0
		.amdhsa_float_round_mode_16_64 0
		.amdhsa_float_denorm_mode_32 3
		.amdhsa_float_denorm_mode_16_64 3
		.amdhsa_dx10_clamp 1
		.amdhsa_ieee_mode 1
		.amdhsa_fp16_overflow 0
		.amdhsa_tg_split 0
		.amdhsa_exception_fp_ieee_invalid_op 0
		.amdhsa_exception_fp_denorm_src 0
		.amdhsa_exception_fp_ieee_div_zero 0
		.amdhsa_exception_fp_ieee_overflow 0
		.amdhsa_exception_fp_ieee_underflow 0
		.amdhsa_exception_fp_ieee_inexact 0
		.amdhsa_exception_int_div_zero 0
	.end_amdhsa_kernel
	.section	.text._ZN9rocsparseL12csrsv_kernelILj1024ELj32ELb0EiidEEvT3_NS_24const_host_device_scalarIT4_EEPKT2_PKS1_PKS3_SB_lPS3_PiS9_iPS1_21rocsparse_index_base_20rocsparse_fill_mode_20rocsparse_diag_type_b,"axG",@progbits,_ZN9rocsparseL12csrsv_kernelILj1024ELj32ELb0EiidEEvT3_NS_24const_host_device_scalarIT4_EEPKT2_PKS1_PKS3_SB_lPS3_PiS9_iPS1_21rocsparse_index_base_20rocsparse_fill_mode_20rocsparse_diag_type_b,comdat
.Lfunc_end4:
	.size	_ZN9rocsparseL12csrsv_kernelILj1024ELj32ELb0EiidEEvT3_NS_24const_host_device_scalarIT4_EEPKT2_PKS1_PKS3_SB_lPS3_PiS9_iPS1_21rocsparse_index_base_20rocsparse_fill_mode_20rocsparse_diag_type_b, .Lfunc_end4-_ZN9rocsparseL12csrsv_kernelILj1024ELj32ELb0EiidEEvT3_NS_24const_host_device_scalarIT4_EEPKT2_PKS1_PKS3_SB_lPS3_PiS9_iPS1_21rocsparse_index_base_20rocsparse_fill_mode_20rocsparse_diag_type_b
                                        ; -- End function
	.section	.AMDGPU.csdata,"",@progbits
; Kernel info:
; codeLenInByte = 1468
; NumSgprs: 44
; NumVgprs: 20
; NumAgprs: 0
; TotalNumVgprs: 20
; ScratchSize: 0
; MemoryBound: 0
; FloatMode: 240
; IeeeMode: 1
; LDSByteSize: 256 bytes/workgroup (compile time only)
; SGPRBlocks: 5
; VGPRBlocks: 2
; NumSGPRsForWavesPerEU: 44
; NumVGPRsForWavesPerEU: 20
; AccumOffset: 20
; Occupancy: 8
; WaveLimiterHint : 1
; COMPUTE_PGM_RSRC2:SCRATCH_EN: 0
; COMPUTE_PGM_RSRC2:USER_SGPR: 6
; COMPUTE_PGM_RSRC2:TRAP_HANDLER: 0
; COMPUTE_PGM_RSRC2:TGID_X_EN: 1
; COMPUTE_PGM_RSRC2:TGID_Y_EN: 0
; COMPUTE_PGM_RSRC2:TGID_Z_EN: 0
; COMPUTE_PGM_RSRC2:TIDIG_COMP_CNT: 0
; COMPUTE_PGM_RSRC3_GFX90A:ACCUM_OFFSET: 4
; COMPUTE_PGM_RSRC3_GFX90A:TG_SPLIT: 0
	.section	.text._ZN9rocsparseL12csrsv_kernelILj1024ELj64ELb0EiidEEvT3_NS_24const_host_device_scalarIT4_EEPKT2_PKS1_PKS3_SB_lPS3_PiS9_iPS1_21rocsparse_index_base_20rocsparse_fill_mode_20rocsparse_diag_type_b,"axG",@progbits,_ZN9rocsparseL12csrsv_kernelILj1024ELj64ELb0EiidEEvT3_NS_24const_host_device_scalarIT4_EEPKT2_PKS1_PKS3_SB_lPS3_PiS9_iPS1_21rocsparse_index_base_20rocsparse_fill_mode_20rocsparse_diag_type_b,comdat
	.globl	_ZN9rocsparseL12csrsv_kernelILj1024ELj64ELb0EiidEEvT3_NS_24const_host_device_scalarIT4_EEPKT2_PKS1_PKS3_SB_lPS3_PiS9_iPS1_21rocsparse_index_base_20rocsparse_fill_mode_20rocsparse_diag_type_b ; -- Begin function _ZN9rocsparseL12csrsv_kernelILj1024ELj64ELb0EiidEEvT3_NS_24const_host_device_scalarIT4_EEPKT2_PKS1_PKS3_SB_lPS3_PiS9_iPS1_21rocsparse_index_base_20rocsparse_fill_mode_20rocsparse_diag_type_b
	.p2align	8
	.type	_ZN9rocsparseL12csrsv_kernelILj1024ELj64ELb0EiidEEvT3_NS_24const_host_device_scalarIT4_EEPKT2_PKS1_PKS3_SB_lPS3_PiS9_iPS1_21rocsparse_index_base_20rocsparse_fill_mode_20rocsparse_diag_type_b,@function
_ZN9rocsparseL12csrsv_kernelILj1024ELj64ELb0EiidEEvT3_NS_24const_host_device_scalarIT4_EEPKT2_PKS1_PKS3_SB_lPS3_PiS9_iPS1_21rocsparse_index_base_20rocsparse_fill_mode_20rocsparse_diag_type_b: ; @_ZN9rocsparseL12csrsv_kernelILj1024ELj64ELb0EiidEEvT3_NS_24const_host_device_scalarIT4_EEPKT2_PKS1_PKS3_SB_lPS3_PiS9_iPS1_21rocsparse_index_base_20rocsparse_fill_mode_20rocsparse_diag_type_b
; %bb.0:
	s_load_dwordx4 s[8:11], s[4:5], 0x60
	s_load_dwordx2 s[0:1], s[4:5], 0x8
	s_waitcnt lgkmcnt(0)
	s_bitcmp1_b32 s11, 0
	s_cselect_b64 s[2:3], -1, 0
	s_and_b64 vcc, exec, s[2:3]
	v_pk_mov_b32 v[4:5], s[0:1], s[0:1] op_sel:[0,1]
	s_cbranch_vccnz .LBB5_2
; %bb.1:
	v_pk_mov_b32 v[2:3], s[0:1], s[0:1] op_sel:[0,1]
	flat_load_dwordx2 v[4:5], v[2:3]
.LBB5_2:
	s_load_dword s1, s[4:5], 0x0
	v_lshrrev_b32_e32 v1, 6, v0
	v_readfirstlane_b32 s11, v1
	s_lshl_b32 s0, s6, 4
	s_add_i32 s0, s11, s0
	s_waitcnt lgkmcnt(0)
	s_cmp_ge_i32 s0, s1
	s_cbranch_scc1 .LBB5_46
; %bb.3:
	s_load_dword s1, s[4:5], 0x50
	s_load_dwordx2 s[2:3], s[4:5], 0x48
	v_and_b32_e32 v10, 63, v0
	v_cmp_eq_u32_e32 vcc, 0, v10
	v_pk_mov_b32 v[2:3], 0, 0
	s_waitcnt lgkmcnt(0)
	s_add_i32 s0, s0, s1
	s_ashr_i32 s1, s0, 31
	s_lshl_b64 s[0:1], s[0:1], 2
	s_add_u32 s0, s2, s0
	s_addc_u32 s1, s3, s1
	s_load_dword s6, s[0:1], 0x0
	s_load_dwordx2 s[2:3], s[4:5], 0x10
	s_load_dwordx4 s[12:15], s[4:5], 0x38
	s_waitcnt lgkmcnt(0)
	s_ashr_i32 s7, s6, 31
	s_lshl_b64 s[20:21], s[6:7], 2
	s_add_u32 s0, s2, s20
	s_addc_u32 s1, s3, s21
	s_load_dwordx2 s[0:1], s[0:1], 0x0
	s_and_saveexec_b64 s[2:3], vcc
	s_cbranch_execz .LBB5_5
; %bb.4:
	s_load_dwordx4 s[16:19], s[4:5], 0x28
	s_waitcnt lgkmcnt(0)
	s_mul_i32 s19, s6, s19
	s_mul_hi_u32 s22, s6, s18
	s_mul_i32 s23, s7, s18
	s_add_i32 s19, s22, s19
	s_add_i32 s19, s19, s23
	s_mul_i32 s18, s6, s18
	s_lshl_b64 s[18:19], s[18:19], 3
	s_add_u32 s16, s16, s18
	s_addc_u32 s17, s17, s19
	s_load_dwordx2 s[16:17], s[16:17], 0x0
	s_waitcnt vmcnt(0) lgkmcnt(0)
	v_mul_f64 v[2:3], v[4:5], s[16:17]
.LBB5_5:
	s_or_b64 exec, exec, s[2:3]
	v_subrev_u32_e32 v0, s8, v10
	s_waitcnt lgkmcnt(0)
	s_sub_i32 s33, s1, s8
	v_add_u32_e32 v0, s0, v0
	v_cmp_gt_i32_e32 vcc, s33, v0
	s_and_saveexec_b64 s[22:23], vcc
	s_cbranch_execz .LBB5_43
; %bb.6:
	s_load_dwordx2 s[24:25], s[4:5], 0x58
	s_load_dwordx4 s[16:19], s[4:5], 0x18
	s_cmp_eq_u32 s10, 0
	s_cselect_b64 s[26:27], -1, 0
	v_cndmask_b32_e64 v1, 0, 1, s[26:27]
	s_add_i32 s38, s6, s8
	s_lshl_b32 s39, s11, 3
	s_mov_b64 s[28:29], 0
	s_waitcnt lgkmcnt(0)
	v_mov_b32_e32 v11, s17
	v_mov_b32_e32 v12, s19
	;; [unrolled: 1-line block ×3, first 2 shown]
	v_cmp_ne_u32_e64 s[0:1], 1, v1
	s_branch .LBB5_8
.LBB5_7:                                ;   in Loop: Header=BB5_8 Depth=1
	s_or_b64 exec, exec, s[30:31]
	s_and_b64 s[2:3], exec, s[2:3]
	s_or_b64 s[28:29], s[2:3], s[28:29]
	v_pk_mov_b32 v[2:3], v[8:9], v[8:9] op_sel:[0,1]
	s_andn2_b64 exec, exec, s[28:29]
	s_cbranch_execz .LBB5_42
.LBB5_8:                                ; =>This Loop Header: Depth=1
                                        ;     Child Loop BB5_33 Depth 2
	v_ashrrev_i32_e32 v1, 31, v0
	s_waitcnt vmcnt(0)
	v_lshlrev_b64 v[4:5], 2, v[0:1]
	v_add_co_u32_e32 v4, vcc, s16, v4
	v_addc_co_u32_e32 v5, vcc, v11, v5, vcc
	global_load_dword v6, v[4:5], off glc slc
	v_lshlrev_b64 v[4:5], 3, v[0:1]
	v_add_co_u32_e32 v4, vcc, s18, v4
	v_addc_co_u32_e32 v5, vcc, v12, v5, vcc
	global_load_dwordx2 v[4:5], v[4:5], off glc slc
	s_waitcnt vmcnt(1)
	v_subrev_u32_e32 v6, s8, v6
	v_cmp_eq_u32_e32 vcc, s6, v6
	s_and_b64 s[4:5], s[26:27], vcc
	s_waitcnt vmcnt(0)
	v_cmp_eq_f64_e64 s[2:3], 0, v[4:5]
	s_and_b64 s[2:3], s[2:3], s[4:5]
	s_and_saveexec_b64 s[4:5], s[2:3]
	s_cbranch_execz .LBB5_12
; %bb.9:                                ;   in Loop: Header=BB5_8 Depth=1
	v_mbcnt_lo_u32_b32 v1, exec_lo, 0
	v_mbcnt_hi_u32_b32 v1, exec_hi, v1
	v_cmp_eq_u32_e64 s[2:3], 0, v1
	s_and_saveexec_b64 s[30:31], s[2:3]
	s_cbranch_execz .LBB5_11
; %bb.10:                               ;   in Loop: Header=BB5_8 Depth=1
	v_mov_b32_e32 v1, s38
	global_atomic_smin v13, v1, s[24:25]
.LBB5_11:                               ;   in Loop: Header=BB5_8 Depth=1
	s_or_b64 exec, exec, s[30:31]
	v_mov_b32_e32 v4, 0
	v_mov_b32_e32 v5, 0x3ff00000
.LBB5_12:                               ;   in Loop: Header=BB5_8 Depth=1
	s_or_b64 exec, exec, s[4:5]
	v_cmp_ne_u32_e64 s[2:3], s6, v6
	s_cmp_lt_i32 s9, 1
	s_mov_b64 s[30:31], 0
	s_cbranch_scc1 .LBB5_21
; %bb.13:                               ;   in Loop: Header=BB5_8 Depth=1
	s_cmp_eq_u32 s9, 1
	s_cbranch_scc0 .LBB5_22
; %bb.14:                               ;   in Loop: Header=BB5_8 Depth=1
	v_cmp_le_i32_e64 s[4:5], s6, v6
	s_mov_b64 s[34:35], 0
	s_and_saveexec_b64 s[36:37], s[4:5]
	s_cbranch_execz .LBB5_20
; %bb.15:                               ;   in Loop: Header=BB5_8 Depth=1
	s_mov_b64 s[34:35], -1
	s_and_saveexec_b64 s[4:5], vcc
	s_xor_b64 s[4:5], exec, s[4:5]
	s_cbranch_execz .LBB5_19
; %bb.16:                               ;   in Loop: Header=BB5_8 Depth=1
	s_and_b64 vcc, exec, s[0:1]
	s_cbranch_vccnz .LBB5_18
; %bb.17:                               ;   in Loop: Header=BB5_8 Depth=1
	v_div_scale_f64 v[8:9], s[34:35], v[4:5], v[4:5], 1.0
	v_rcp_f64_e32 v[14:15], v[8:9]
	v_div_scale_f64 v[16:17], vcc, 1.0, v[4:5], 1.0
	v_mov_b32_e32 v1, s39
	v_fma_f64 v[18:19], -v[8:9], v[14:15], 1.0
	v_fmac_f64_e32 v[14:15], v[14:15], v[18:19]
	v_fma_f64 v[18:19], -v[8:9], v[14:15], 1.0
	v_fmac_f64_e32 v[14:15], v[14:15], v[18:19]
	v_mul_f64 v[18:19], v[16:17], v[14:15]
	v_fma_f64 v[8:9], -v[8:9], v[18:19], v[16:17]
	v_div_fmas_f64 v[8:9], v[8:9], v[14:15], v[18:19]
	v_div_fixup_f64 v[8:9], v[8:9], v[4:5], 1.0
	ds_write_b64 v1, v[8:9]
.LBB5_18:                               ;   in Loop: Header=BB5_8 Depth=1
	s_xor_b64 s[34:35], exec, -1
.LBB5_19:                               ;   in Loop: Header=BB5_8 Depth=1
	s_or_b64 exec, exec, s[4:5]
	s_and_b64 s[34:35], s[34:35], exec
.LBB5_20:                               ;   in Loop: Header=BB5_8 Depth=1
	s_or_b64 exec, exec, s[36:37]
	s_mov_b32 s17, 4
	v_pk_mov_b32 v[8:9], v[2:3], v[2:3] op_sel:[0,1]
	s_branch .LBB5_23
.LBB5_21:                               ;   in Loop: Header=BB5_8 Depth=1
	s_mov_b64 s[34:35], 0
                                        ; implicit-def: $sgpr17
                                        ; implicit-def: $vgpr8_vgpr9
	s_cbranch_execnz .LBB5_24
	s_branch .LBB5_26
.LBB5_22:                               ;   in Loop: Header=BB5_8 Depth=1
	s_mov_b64 s[34:35], -1
                                        ; implicit-def: $sgpr17
                                        ; implicit-def: $vgpr8_vgpr9
.LBB5_23:                               ;   in Loop: Header=BB5_8 Depth=1
	s_branch .LBB5_26
.LBB5_24:                               ;   in Loop: Header=BB5_8 Depth=1
	s_cmp_eq_u32 s9, 0
	s_cbranch_scc1 .LBB5_28
; %bb.25:                               ;   in Loop: Header=BB5_8 Depth=1
	s_mov_b64 s[34:35], -1
                                        ; implicit-def: $sgpr17
                                        ; implicit-def: $vgpr8_vgpr9
.LBB5_26:                               ;   in Loop: Header=BB5_8 Depth=1
	v_mov_b32_e32 v1, s17
	s_and_saveexec_b64 s[2:3], s[34:35]
	s_cbranch_execnz .LBB5_31
.LBB5_27:                               ;   in Loop: Header=BB5_8 Depth=1
	s_or_b64 exec, exec, s[2:3]
	s_and_saveexec_b64 s[2:3], s[30:31]
	s_cbranch_execnz .LBB5_35
	s_branch .LBB5_38
.LBB5_28:                               ;   in Loop: Header=BB5_8 Depth=1
	v_cmp_ge_i32_e32 vcc, s6, v6
	s_mov_b64 s[34:35], 0
	s_and_saveexec_b64 s[4:5], vcc
; %bb.29:                               ;   in Loop: Header=BB5_8 Depth=1
	s_mov_b64 s[30:31], exec
	s_and_b64 s[34:35], s[2:3], exec
; %bb.30:                               ;   in Loop: Header=BB5_8 Depth=1
	s_or_b64 exec, exec, s[4:5]
	s_mov_b32 s17, 2
	v_pk_mov_b32 v[8:9], v[2:3], v[2:3] op_sel:[0,1]
	v_mov_b32_e32 v1, s17
	s_and_saveexec_b64 s[2:3], s[34:35]
	s_cbranch_execz .LBB5_27
.LBB5_31:                               ;   in Loop: Header=BB5_8 Depth=1
	v_ashrrev_i32_e32 v7, 31, v6
	v_lshlrev_b64 v[8:9], 2, v[6:7]
	v_mov_b32_e32 v1, s15
	v_add_co_u32_e32 v8, vcc, s14, v8
	v_addc_co_u32_e32 v9, vcc, v1, v9, vcc
	global_load_dword v1, v[8:9], off glc
	s_waitcnt vmcnt(0)
	v_cmp_eq_u32_e32 vcc, 0, v1
	s_and_saveexec_b64 s[4:5], vcc
	s_cbranch_execz .LBB5_34
; %bb.32:                               ;   in Loop: Header=BB5_8 Depth=1
	s_mov_b64 s[34:35], 0
.LBB5_33:                               ;   Parent Loop BB5_8 Depth=1
                                        ; =>  This Inner Loop Header: Depth=2
	global_load_dword v1, v[8:9], off glc
	s_waitcnt vmcnt(0)
	v_cmp_ne_u32_e32 vcc, 0, v1
	s_or_b64 s[34:35], vcc, s[34:35]
	s_andn2_b64 exec, exec, s[34:35]
	s_cbranch_execnz .LBB5_33
.LBB5_34:                               ;   in Loop: Header=BB5_8 Depth=1
	s_or_b64 exec, exec, s[4:5]
	v_lshlrev_b64 v[6:7], 3, v[6:7]
	v_mov_b32_e32 v1, s13
	v_add_co_u32_e32 v6, vcc, s12, v6
	v_addc_co_u32_e32 v7, vcc, v1, v7, vcc
	s_waitcnt lgkmcnt(0)
	buffer_wbinvl1_vol
	global_load_dwordx2 v[6:7], v[6:7], off
	v_mov_b32_e32 v1, 0
	s_andn2_b64 s[30:31], s[30:31], exec
	s_waitcnt vmcnt(0)
	v_fma_f64 v[8:9], -v[4:5], v[6:7], v[2:3]
	s_or_b64 exec, exec, s[2:3]
	s_and_saveexec_b64 s[2:3], s[30:31]
	s_cbranch_execz .LBB5_38
.LBB5_35:                               ;   in Loop: Header=BB5_8 Depth=1
	s_and_b64 vcc, exec, s[0:1]
	s_cbranch_vccnz .LBB5_37
; %bb.36:                               ;   in Loop: Header=BB5_8 Depth=1
	v_div_scale_f64 v[6:7], s[4:5], v[4:5], v[4:5], 1.0
	v_rcp_f64_e32 v[8:9], v[6:7]
	v_div_scale_f64 v[14:15], vcc, 1.0, v[4:5], 1.0
	v_mov_b32_e32 v1, s39
	v_fma_f64 v[16:17], -v[6:7], v[8:9], 1.0
	v_fmac_f64_e32 v[8:9], v[8:9], v[16:17]
	v_fma_f64 v[16:17], -v[6:7], v[8:9], 1.0
	v_fmac_f64_e32 v[8:9], v[8:9], v[16:17]
	v_mul_f64 v[16:17], v[14:15], v[8:9]
	v_fma_f64 v[6:7], -v[6:7], v[16:17], v[14:15]
	v_div_fmas_f64 v[6:7], v[6:7], v[8:9], v[16:17]
	v_div_fixup_f64 v[4:5], v[6:7], v[4:5], 1.0
	ds_write_b64 v1, v[4:5]
.LBB5_37:                               ;   in Loop: Header=BB5_8 Depth=1
	v_mov_b32_e32 v1, 2
	v_pk_mov_b32 v[8:9], v[2:3], v[2:3] op_sel:[0,1]
.LBB5_38:                               ;   in Loop: Header=BB5_8 Depth=1
	s_or_b64 exec, exec, s[2:3]
	v_cmp_gt_i32_e32 vcc, 4, v1
	s_mov_b64 s[2:3], -1
	s_mov_b64 s[4:5], -1
	s_and_saveexec_b64 s[30:31], vcc
; %bb.39:                               ;   in Loop: Header=BB5_8 Depth=1
	v_cmp_eq_u32_e32 vcc, 0, v1
	s_orn2_b64 s[4:5], vcc, exec
; %bb.40:                               ;   in Loop: Header=BB5_8 Depth=1
	s_or_b64 exec, exec, s[30:31]
	s_and_saveexec_b64 s[30:31], s[4:5]
	s_cbranch_execz .LBB5_7
; %bb.41:                               ;   in Loop: Header=BB5_8 Depth=1
	v_add_u32_e32 v0, 64, v0
	v_cmp_le_i32_e32 vcc, s33, v0
	s_orn2_b64 s[2:3], vcc, exec
	s_branch .LBB5_7
.LBB5_42:
	s_or_b64 exec, exec, s[28:29]
	v_pk_mov_b32 v[2:3], v[8:9], v[8:9] op_sel:[0,1]
.LBB5_43:
	s_or_b64 exec, exec, s[22:23]
	s_nop 0
	v_mov_b32_dpp v0, v2 row_shr:1 row_mask:0xf bank_mask:0xf
	v_mov_b32_dpp v1, v3 row_shr:1 row_mask:0xf bank_mask:0xf
	v_add_f64 v[0:1], v[2:3], v[0:1]
	s_cmp_lg_u32 s10, 0
	s_nop 0
	v_mov_b32_dpp v2, v0 row_shr:2 row_mask:0xf bank_mask:0xf
	v_mov_b32_dpp v3, v1 row_shr:2 row_mask:0xf bank_mask:0xf
	v_add_f64 v[0:1], v[0:1], v[2:3]
	s_nop 1
	v_mov_b32_dpp v2, v0 row_shr:4 row_mask:0xf bank_mask:0xe
	v_mov_b32_dpp v3, v1 row_shr:4 row_mask:0xf bank_mask:0xe
	v_add_f64 v[0:1], v[0:1], v[2:3]
	;; [unrolled: 4-line block ×3, first 2 shown]
	s_nop 1
	v_mov_b32_dpp v2, v0 row_bcast:15 row_mask:0xa bank_mask:0xf
	v_mov_b32_dpp v3, v1 row_bcast:15 row_mask:0xa bank_mask:0xf
	v_add_f64 v[0:1], v[0:1], v[2:3]
	s_nop 1
	v_mov_b32_dpp v2, v0 row_bcast:31 row_mask:0xc bank_mask:0xf
	v_mov_b32_dpp v3, v1 row_bcast:31 row_mask:0xc bank_mask:0xf
	v_add_f64 v[0:1], v[0:1], v[2:3]
	s_cbranch_scc0 .LBB5_47
; %bb.44:
	v_cmp_eq_u32_e32 vcc, 63, v10
	s_and_saveexec_b64 s[0:1], vcc
	s_cbranch_execz .LBB5_46
.LBB5_45:
	s_lshl_b64 s[0:1], s[6:7], 3
	s_add_u32 s0, s12, s0
	s_addc_u32 s1, s13, s1
	v_mov_b32_e32 v2, 0
	s_add_u32 s2, s14, s20
	s_addc_u32 s3, s15, s21
	global_store_dwordx2 v2, v[0:1], s[0:1] glc slc
	v_mov_b32_e32 v0, 1
	s_waitcnt vmcnt(0)
	global_store_dword v2, v0, s[2:3]
.LBB5_46:
	s_endpgm
.LBB5_47:
	s_lshl_b32 s0, s11, 3
	v_mov_b32_e32 v2, s0
	s_waitcnt lgkmcnt(0)
	ds_read_b64 v[2:3], v2
	s_waitcnt lgkmcnt(0)
	v_mul_f64 v[0:1], v[0:1], v[2:3]
	v_cmp_eq_u32_e32 vcc, 63, v10
	s_and_saveexec_b64 s[0:1], vcc
	s_cbranch_execnz .LBB5_45
	s_branch .LBB5_46
	.section	.rodata,"a",@progbits
	.p2align	6, 0x0
	.amdhsa_kernel _ZN9rocsparseL12csrsv_kernelILj1024ELj64ELb0EiidEEvT3_NS_24const_host_device_scalarIT4_EEPKT2_PKS1_PKS3_SB_lPS3_PiS9_iPS1_21rocsparse_index_base_20rocsparse_fill_mode_20rocsparse_diag_type_b
		.amdhsa_group_segment_fixed_size 128
		.amdhsa_private_segment_fixed_size 0
		.amdhsa_kernarg_size 112
		.amdhsa_user_sgpr_count 6
		.amdhsa_user_sgpr_private_segment_buffer 1
		.amdhsa_user_sgpr_dispatch_ptr 0
		.amdhsa_user_sgpr_queue_ptr 0
		.amdhsa_user_sgpr_kernarg_segment_ptr 1
		.amdhsa_user_sgpr_dispatch_id 0
		.amdhsa_user_sgpr_flat_scratch_init 0
		.amdhsa_user_sgpr_kernarg_preload_length 0
		.amdhsa_user_sgpr_kernarg_preload_offset 0
		.amdhsa_user_sgpr_private_segment_size 0
		.amdhsa_uses_dynamic_stack 0
		.amdhsa_system_sgpr_private_segment_wavefront_offset 0
		.amdhsa_system_sgpr_workgroup_id_x 1
		.amdhsa_system_sgpr_workgroup_id_y 0
		.amdhsa_system_sgpr_workgroup_id_z 0
		.amdhsa_system_sgpr_workgroup_info 0
		.amdhsa_system_vgpr_workitem_id 0
		.amdhsa_next_free_vgpr 20
		.amdhsa_next_free_sgpr 40
		.amdhsa_accum_offset 20
		.amdhsa_reserve_vcc 1
		.amdhsa_reserve_flat_scratch 0
		.amdhsa_float_round_mode_32 0
		.amdhsa_float_round_mode_16_64 0
		.amdhsa_float_denorm_mode_32 3
		.amdhsa_float_denorm_mode_16_64 3
		.amdhsa_dx10_clamp 1
		.amdhsa_ieee_mode 1
		.amdhsa_fp16_overflow 0
		.amdhsa_tg_split 0
		.amdhsa_exception_fp_ieee_invalid_op 0
		.amdhsa_exception_fp_denorm_src 0
		.amdhsa_exception_fp_ieee_div_zero 0
		.amdhsa_exception_fp_ieee_overflow 0
		.amdhsa_exception_fp_ieee_underflow 0
		.amdhsa_exception_fp_ieee_inexact 0
		.amdhsa_exception_int_div_zero 0
	.end_amdhsa_kernel
	.section	.text._ZN9rocsparseL12csrsv_kernelILj1024ELj64ELb0EiidEEvT3_NS_24const_host_device_scalarIT4_EEPKT2_PKS1_PKS3_SB_lPS3_PiS9_iPS1_21rocsparse_index_base_20rocsparse_fill_mode_20rocsparse_diag_type_b,"axG",@progbits,_ZN9rocsparseL12csrsv_kernelILj1024ELj64ELb0EiidEEvT3_NS_24const_host_device_scalarIT4_EEPKT2_PKS1_PKS3_SB_lPS3_PiS9_iPS1_21rocsparse_index_base_20rocsparse_fill_mode_20rocsparse_diag_type_b,comdat
.Lfunc_end5:
	.size	_ZN9rocsparseL12csrsv_kernelILj1024ELj64ELb0EiidEEvT3_NS_24const_host_device_scalarIT4_EEPKT2_PKS1_PKS3_SB_lPS3_PiS9_iPS1_21rocsparse_index_base_20rocsparse_fill_mode_20rocsparse_diag_type_b, .Lfunc_end5-_ZN9rocsparseL12csrsv_kernelILj1024ELj64ELb0EiidEEvT3_NS_24const_host_device_scalarIT4_EEPKT2_PKS1_PKS3_SB_lPS3_PiS9_iPS1_21rocsparse_index_base_20rocsparse_fill_mode_20rocsparse_diag_type_b
                                        ; -- End function
	.section	.AMDGPU.csdata,"",@progbits
; Kernel info:
; codeLenInByte = 1496
; NumSgprs: 44
; NumVgprs: 20
; NumAgprs: 0
; TotalNumVgprs: 20
; ScratchSize: 0
; MemoryBound: 0
; FloatMode: 240
; IeeeMode: 1
; LDSByteSize: 128 bytes/workgroup (compile time only)
; SGPRBlocks: 5
; VGPRBlocks: 2
; NumSGPRsForWavesPerEU: 44
; NumVGPRsForWavesPerEU: 20
; AccumOffset: 20
; Occupancy: 8
; WaveLimiterHint : 1
; COMPUTE_PGM_RSRC2:SCRATCH_EN: 0
; COMPUTE_PGM_RSRC2:USER_SGPR: 6
; COMPUTE_PGM_RSRC2:TRAP_HANDLER: 0
; COMPUTE_PGM_RSRC2:TGID_X_EN: 1
; COMPUTE_PGM_RSRC2:TGID_Y_EN: 0
; COMPUTE_PGM_RSRC2:TGID_Z_EN: 0
; COMPUTE_PGM_RSRC2:TIDIG_COMP_CNT: 0
; COMPUTE_PGM_RSRC3_GFX90A:ACCUM_OFFSET: 4
; COMPUTE_PGM_RSRC3_GFX90A:TG_SPLIT: 0
	.section	.text._ZN9rocsparseL12csrsv_kernelILj1024ELj64ELb1Eii21rocsparse_complex_numIfEEEvT3_NS_24const_host_device_scalarIT4_EEPKT2_PKS3_PKS5_SD_lPS5_PiSB_iPS3_21rocsparse_index_base_20rocsparse_fill_mode_20rocsparse_diag_type_b,"axG",@progbits,_ZN9rocsparseL12csrsv_kernelILj1024ELj64ELb1Eii21rocsparse_complex_numIfEEEvT3_NS_24const_host_device_scalarIT4_EEPKT2_PKS3_PKS5_SD_lPS5_PiSB_iPS3_21rocsparse_index_base_20rocsparse_fill_mode_20rocsparse_diag_type_b,comdat
	.globl	_ZN9rocsparseL12csrsv_kernelILj1024ELj64ELb1Eii21rocsparse_complex_numIfEEEvT3_NS_24const_host_device_scalarIT4_EEPKT2_PKS3_PKS5_SD_lPS5_PiSB_iPS3_21rocsparse_index_base_20rocsparse_fill_mode_20rocsparse_diag_type_b ; -- Begin function _ZN9rocsparseL12csrsv_kernelILj1024ELj64ELb1Eii21rocsparse_complex_numIfEEEvT3_NS_24const_host_device_scalarIT4_EEPKT2_PKS3_PKS5_SD_lPS5_PiSB_iPS3_21rocsparse_index_base_20rocsparse_fill_mode_20rocsparse_diag_type_b
	.p2align	8
	.type	_ZN9rocsparseL12csrsv_kernelILj1024ELj64ELb1Eii21rocsparse_complex_numIfEEEvT3_NS_24const_host_device_scalarIT4_EEPKT2_PKS3_PKS5_SD_lPS5_PiSB_iPS3_21rocsparse_index_base_20rocsparse_fill_mode_20rocsparse_diag_type_b,@function
_ZN9rocsparseL12csrsv_kernelILj1024ELj64ELb1Eii21rocsparse_complex_numIfEEEvT3_NS_24const_host_device_scalarIT4_EEPKT2_PKS3_PKS5_SD_lPS5_PiSB_iPS3_21rocsparse_index_base_20rocsparse_fill_mode_20rocsparse_diag_type_b: ; @_ZN9rocsparseL12csrsv_kernelILj1024ELj64ELb1Eii21rocsparse_complex_numIfEEEvT3_NS_24const_host_device_scalarIT4_EEPKT2_PKS3_PKS5_SD_lPS5_PiSB_iPS3_21rocsparse_index_base_20rocsparse_fill_mode_20rocsparse_diag_type_b
; %bb.0:
	s_load_dwordx4 s[8:11], s[4:5], 0x60
	s_load_dwordx2 s[0:1], s[4:5], 0x8
	s_waitcnt lgkmcnt(0)
	s_bitcmp1_b32 s11, 0
	s_cselect_b64 s[2:3], -1, 0
	s_xor_b64 s[12:13], s[2:3], -1
	s_and_b64 vcc, exec, s[2:3]
	s_mov_b32 s2, s0
	s_cbranch_vccnz .LBB6_2
; %bb.1:
	s_load_dword s2, s[0:1], 0x0
.LBB6_2:
	s_andn2_b64 vcc, exec, s[12:13]
	s_cbranch_vccnz .LBB6_4
; %bb.3:
	s_load_dword s1, s[0:1], 0x4
.LBB6_4:
	s_nop 0
	s_load_dword s3, s[4:5], 0x0
	v_lshrrev_b32_e32 v1, 6, v0
	v_readfirstlane_b32 s11, v1
	s_lshl_b32 s0, s6, 4
	s_add_i32 s0, s11, s0
	s_waitcnt lgkmcnt(0)
	s_cmp_ge_i32 s0, s3
	s_cbranch_scc1 .LBB6_50
; %bb.5:
	s_load_dword s3, s[4:5], 0x50
	s_load_dwordx2 s[6:7], s[4:5], 0x48
	v_and_b32_e32 v10, 63, v0
	v_cmp_eq_u32_e32 vcc, 0, v10
	s_waitcnt lgkmcnt(0)
	s_add_i32 s12, s0, s3
	s_ashr_i32 s13, s12, 31
	s_lshl_b64 s[12:13], s[12:13], 2
	s_add_u32 s16, s6, s12
	s_addc_u32 s17, s7, s13
	s_load_dword s6, s[16:17], 0x0
	s_load_dwordx2 s[18:19], s[4:5], 0x10
	s_load_dwordx4 s[12:15], s[4:5], 0x38
	s_waitcnt lgkmcnt(0)
	s_ashr_i32 s7, s6, 31
	s_lshl_b64 s[20:21], s[6:7], 2
	s_add_u32 s16, s18, s20
	s_addc_u32 s17, s19, s21
	s_load_dwordx2 s[16:17], s[16:17], 0x0
	s_mov_b32 s18, 0
	s_mov_b32 s19, s18
	v_pk_mov_b32 v[2:3], s[18:19], s[18:19] op_sel:[0,1]
	s_and_saveexec_b64 s[18:19], vcc
	s_cbranch_execz .LBB6_7
; %bb.6:
	s_load_dwordx4 s[24:27], s[4:5], 0x28
	v_mov_b32_e32 v1, s2
	s_waitcnt lgkmcnt(0)
	s_mul_i32 s0, s6, s27
	s_mul_hi_u32 s3, s6, s26
	s_mul_i32 s23, s7, s26
	s_add_i32 s0, s3, s0
	s_mul_i32 s22, s6, s26
	s_add_i32 s23, s0, s23
	s_lshl_b64 s[22:23], s[22:23], 3
	s_add_u32 s22, s24, s22
	s_addc_u32 s23, s25, s23
	s_load_dwordx2 s[22:23], s[22:23], 0x0
	s_xor_b32 s0, s1, 0x80000000
	v_mov_b32_e32 v0, s0
	s_mov_b32 s3, s1
	s_waitcnt lgkmcnt(0)
	v_pk_mul_f32 v[0:1], s[22:23], v[0:1] op_sel:[1,0]
	v_pk_mov_b32 v[2:3], s[22:23], s[22:23] op_sel:[0,1]
	v_pk_fma_f32 v[2:3], s[2:3], v[2:3], v[0:1] op_sel_hi:[1,0,1]
.LBB6_7:
	s_or_b64 exec, exec, s[18:19]
	v_subrev_u32_e32 v0, s8, v10
	s_waitcnt lgkmcnt(0)
	s_sub_i32 s33, s17, s8
	v_add_u32_e32 v0, s16, v0
	v_cmp_gt_i32_e32 vcc, s33, v0
	s_and_saveexec_b64 s[22:23], vcc
	s_cbranch_execz .LBB6_47
; %bb.8:
	s_load_dwordx2 s[24:25], s[4:5], 0x58
	s_load_dwordx4 s[16:19], s[4:5], 0x18
	s_cmp_eq_u32 s10, 0
	s_cselect_b64 s[26:27], -1, 0
	v_cndmask_b32_e64 v1, 0, 1, s[26:27]
	s_add_i32 s38, s6, s8
	s_lshl_b32 s39, s11, 3
	s_mov_b64 s[28:29], 0
	s_waitcnt lgkmcnt(0)
	v_mov_b32_e32 v11, s17
	v_mov_b32_e32 v12, s19
	;; [unrolled: 1-line block ×3, first 2 shown]
	v_cmp_ne_u32_e64 s[0:1], 1, v1
	s_branch .LBB6_10
.LBB6_9:                                ;   in Loop: Header=BB6_10 Depth=1
	s_or_b64 exec, exec, s[30:31]
	s_and_b64 s[2:3], exec, s[2:3]
	s_or_b64 s[28:29], s[2:3], s[28:29]
	v_pk_mov_b32 v[2:3], v[8:9], v[8:9] op_sel:[0,1]
	s_andn2_b64 exec, exec, s[28:29]
	s_cbranch_execz .LBB6_46
.LBB6_10:                               ; =>This Loop Header: Depth=1
                                        ;     Child Loop BB6_36 Depth 2
                                        ;       Child Loop BB6_37 Depth 3
	v_ashrrev_i32_e32 v1, 31, v0
	v_lshlrev_b64 v[4:5], 2, v[0:1]
	v_add_co_u32_e32 v4, vcc, s16, v4
	v_addc_co_u32_e32 v5, vcc, v11, v5, vcc
	global_load_dword v6, v[4:5], off glc slc
	v_lshlrev_b64 v[4:5], 3, v[0:1]
	v_add_co_u32_e32 v4, vcc, s18, v4
	v_addc_co_u32_e32 v5, vcc, v12, v5, vcc
	global_load_dwordx2 v[4:5], v[4:5], off glc slc
	s_waitcnt vmcnt(1)
	v_subrev_u32_e32 v6, s8, v6
	s_waitcnt vmcnt(0)
	v_cmp_eq_f32_e32 vcc, 0, v4
	v_cmp_eq_f32_e64 s[2:3], 0, v5
	s_and_b64 s[2:3], vcc, s[2:3]
	v_cmp_eq_u32_e32 vcc, s6, v6
	s_and_b64 s[2:3], s[2:3], vcc
	s_and_b64 s[2:3], s[26:27], s[2:3]
	s_and_saveexec_b64 s[4:5], s[2:3]
	s_cbranch_execz .LBB6_14
; %bb.11:                               ;   in Loop: Header=BB6_10 Depth=1
	v_mbcnt_lo_u32_b32 v1, exec_lo, 0
	v_mbcnt_hi_u32_b32 v1, exec_hi, v1
	v_cmp_eq_u32_e64 s[2:3], 0, v1
	s_and_saveexec_b64 s[30:31], s[2:3]
	s_cbranch_execz .LBB6_13
; %bb.12:                               ;   in Loop: Header=BB6_10 Depth=1
	v_mov_b32_e32 v1, s38
	global_atomic_smin v13, v1, s[24:25]
.LBB6_13:                               ;   in Loop: Header=BB6_10 Depth=1
	s_or_b64 exec, exec, s[30:31]
	v_mov_b32_e32 v4, 1.0
	v_mov_b32_e32 v5, 0
.LBB6_14:                               ;   in Loop: Header=BB6_10 Depth=1
	s_or_b64 exec, exec, s[4:5]
	v_cmp_ne_u32_e64 s[2:3], s6, v6
	s_cmp_lt_i32 s9, 1
	s_mov_b64 s[30:31], 0
	s_cbranch_scc1 .LBB6_23
; %bb.15:                               ;   in Loop: Header=BB6_10 Depth=1
	s_cmp_eq_u32 s9, 1
	s_cbranch_scc0 .LBB6_24
; %bb.16:                               ;   in Loop: Header=BB6_10 Depth=1
	v_cmp_le_i32_e64 s[4:5], s6, v6
	s_mov_b64 s[34:35], 0
	s_and_saveexec_b64 s[36:37], s[4:5]
	s_cbranch_execz .LBB6_22
; %bb.17:                               ;   in Loop: Header=BB6_10 Depth=1
	s_mov_b64 s[34:35], -1
	s_and_saveexec_b64 s[4:5], vcc
	s_xor_b64 s[4:5], exec, s[4:5]
	s_cbranch_execz .LBB6_21
; %bb.18:                               ;   in Loop: Header=BB6_10 Depth=1
	s_and_b64 vcc, exec, s[0:1]
	s_cbranch_vccnz .LBB6_20
; %bb.19:                               ;   in Loop: Header=BB6_10 Depth=1
	v_mul_f32_e32 v1, v5, v5
	v_fmac_f32_e32 v1, v4, v4
	v_div_scale_f32 v7, s[34:35], v1, v1, 1.0
	v_rcp_f32_e32 v8, v7
	v_div_scale_f32 v9, vcc, 1.0, v1, 1.0
	v_fma_f32 v14, -v7, v8, 1.0
	v_fmac_f32_e32 v8, v14, v8
	v_mul_f32_e32 v14, v9, v8
	v_fma_f32 v15, -v7, v14, v9
	v_fmac_f32_e32 v14, v15, v8
	v_fma_f32 v7, -v7, v14, v9
	v_div_fmas_f32 v7, v7, v8, v14
	v_div_fixup_f32 v8, v7, v1, 1.0
	v_fma_f32 v14, 0, v5, v4
	v_fma_f32 v15, v4, 0, -v5
	v_pk_mul_f32 v[8:9], v[14:15], v[8:9] op_sel_hi:[1,0]
	v_mov_b32_e32 v1, s39
	ds_write_b64 v1, v[8:9]
.LBB6_20:                               ;   in Loop: Header=BB6_10 Depth=1
	s_xor_b64 s[34:35], exec, -1
.LBB6_21:                               ;   in Loop: Header=BB6_10 Depth=1
	s_or_b64 exec, exec, s[4:5]
	s_and_b64 s[34:35], s[34:35], exec
.LBB6_22:                               ;   in Loop: Header=BB6_10 Depth=1
	s_or_b64 exec, exec, s[36:37]
	s_mov_b32 s17, 4
	v_pk_mov_b32 v[8:9], v[2:3], v[2:3] op_sel:[0,1]
	s_branch .LBB6_25
.LBB6_23:                               ;   in Loop: Header=BB6_10 Depth=1
	s_mov_b64 s[34:35], 0
                                        ; implicit-def: $vgpr8_vgpr9
                                        ; implicit-def: $sgpr17
	s_cbranch_execnz .LBB6_26
	s_branch .LBB6_28
.LBB6_24:                               ;   in Loop: Header=BB6_10 Depth=1
	s_mov_b64 s[34:35], -1
                                        ; implicit-def: $vgpr8_vgpr9
                                        ; implicit-def: $sgpr17
.LBB6_25:                               ;   in Loop: Header=BB6_10 Depth=1
	s_branch .LBB6_28
.LBB6_26:                               ;   in Loop: Header=BB6_10 Depth=1
	s_cmp_eq_u32 s9, 0
	s_cbranch_scc1 .LBB6_30
; %bb.27:                               ;   in Loop: Header=BB6_10 Depth=1
	s_mov_b64 s[34:35], -1
                                        ; implicit-def: $vgpr8_vgpr9
                                        ; implicit-def: $sgpr17
.LBB6_28:                               ;   in Loop: Header=BB6_10 Depth=1
	v_mov_b32_e32 v1, s17
	s_and_saveexec_b64 s[2:3], s[34:35]
	s_cbranch_execnz .LBB6_33
.LBB6_29:                               ;   in Loop: Header=BB6_10 Depth=1
	s_or_b64 exec, exec, s[2:3]
	s_and_saveexec_b64 s[2:3], s[30:31]
	s_cbranch_execnz .LBB6_39
	s_branch .LBB6_42
.LBB6_30:                               ;   in Loop: Header=BB6_10 Depth=1
	v_cmp_ge_i32_e32 vcc, s6, v6
	s_mov_b64 s[34:35], 0
	s_and_saveexec_b64 s[4:5], vcc
; %bb.31:                               ;   in Loop: Header=BB6_10 Depth=1
	s_mov_b64 s[30:31], exec
	s_and_b64 s[34:35], s[2:3], exec
; %bb.32:                               ;   in Loop: Header=BB6_10 Depth=1
	s_or_b64 exec, exec, s[4:5]
	s_mov_b32 s17, 2
	v_pk_mov_b32 v[8:9], v[2:3], v[2:3] op_sel:[0,1]
	v_mov_b32_e32 v1, s17
	s_and_saveexec_b64 s[2:3], s[34:35]
	s_cbranch_execz .LBB6_29
.LBB6_33:                               ;   in Loop: Header=BB6_10 Depth=1
	v_ashrrev_i32_e32 v7, 31, v6
	v_lshlrev_b64 v[8:9], 2, v[6:7]
	v_mov_b32_e32 v1, s15
	v_add_co_u32_e32 v8, vcc, s14, v8
	v_addc_co_u32_e32 v9, vcc, v1, v9, vcc
	global_load_dword v1, v[8:9], off glc
	s_waitcnt vmcnt(0)
	v_cmp_eq_u32_e32 vcc, 0, v1
	s_and_saveexec_b64 s[4:5], vcc
	s_cbranch_execz .LBB6_38
; %bb.34:                               ;   in Loop: Header=BB6_10 Depth=1
	s_mov_b32 s17, 0
	s_mov_b64 s[34:35], 0
	s_branch .LBB6_36
.LBB6_35:                               ;   in Loop: Header=BB6_36 Depth=2
	global_load_dword v1, v[8:9], off glc
	s_cmpk_lt_u32 s17, 0xf43
	s_cselect_b64 s[36:37], -1, 0
	s_cmp_lg_u64 s[36:37], 0
	s_addc_u32 s17, s17, 0
	s_waitcnt vmcnt(0)
	v_cmp_ne_u32_e32 vcc, 0, v1
	s_or_b64 s[34:35], vcc, s[34:35]
	s_andn2_b64 exec, exec, s[34:35]
	s_cbranch_execz .LBB6_38
.LBB6_36:                               ;   Parent Loop BB6_10 Depth=1
                                        ; =>  This Loop Header: Depth=2
                                        ;       Child Loop BB6_37 Depth 3
	s_cmp_eq_u32 s17, 0
	s_mov_b32 s19, s17
	s_cbranch_scc1 .LBB6_35
.LBB6_37:                               ;   Parent Loop BB6_10 Depth=1
                                        ;     Parent Loop BB6_36 Depth=2
                                        ; =>    This Inner Loop Header: Depth=3
	s_add_i32 s19, s19, -1
	s_cmp_eq_u32 s19, 0
	s_sleep 1
	s_cbranch_scc0 .LBB6_37
	s_branch .LBB6_35
.LBB6_38:                               ;   in Loop: Header=BB6_10 Depth=1
	s_or_b64 exec, exec, s[4:5]
	v_lshlrev_b64 v[6:7], 3, v[6:7]
	v_mov_b32_e32 v1, s13
	v_add_co_u32_e32 v6, vcc, s12, v6
	v_addc_co_u32_e32 v7, vcc, v1, v7, vcc
	s_waitcnt lgkmcnt(0)
	buffer_wbinvl1_vol
	global_load_dwordx2 v[6:7], v[6:7], off
	v_mov_b32_e32 v1, 0
	s_andn2_b64 s[30:31], s[30:31], exec
	s_waitcnt vmcnt(0)
	v_pk_fma_f32 v[8:9], v[4:5], v[6:7], v[2:3] op_sel_hi:[1,0,1] neg_lo:[1,0,0] neg_hi:[1,0,0]
	v_pk_fma_f32 v[8:9], v[4:5], v[6:7], v[8:9] op_sel:[1,1,0] op_sel_hi:[0,1,1] neg_hi:[1,0,0]
	s_or_b64 exec, exec, s[2:3]
	s_and_saveexec_b64 s[2:3], s[30:31]
	s_cbranch_execz .LBB6_42
.LBB6_39:                               ;   in Loop: Header=BB6_10 Depth=1
	s_and_b64 vcc, exec, s[0:1]
	s_cbranch_vccnz .LBB6_41
; %bb.40:                               ;   in Loop: Header=BB6_10 Depth=1
	v_mul_f32_e32 v1, v5, v5
	v_fmac_f32_e32 v1, v4, v4
	v_div_scale_f32 v6, s[4:5], v1, v1, 1.0
	v_rcp_f32_e32 v7, v6
	v_div_scale_f32 v8, vcc, 1.0, v1, 1.0
	v_fma_f32 v9, -v6, v7, 1.0
	v_fmac_f32_e32 v7, v9, v7
	v_mul_f32_e32 v9, v8, v7
	v_fma_f32 v14, -v6, v9, v8
	v_fmac_f32_e32 v9, v14, v7
	v_fma_f32 v6, -v6, v9, v8
	v_div_fmas_f32 v6, v6, v7, v9
	v_div_fixup_f32 v6, v6, v1, 1.0
	v_fma_f32 v8, 0, v5, v4
	v_fma_f32 v9, v4, 0, -v5
	v_pk_mul_f32 v[4:5], v[8:9], v[6:7] op_sel_hi:[1,0]
	v_mov_b32_e32 v1, s39
	ds_write_b64 v1, v[4:5]
.LBB6_41:                               ;   in Loop: Header=BB6_10 Depth=1
	v_mov_b32_e32 v1, 2
	v_pk_mov_b32 v[8:9], v[2:3], v[2:3] op_sel:[0,1]
.LBB6_42:                               ;   in Loop: Header=BB6_10 Depth=1
	s_or_b64 exec, exec, s[2:3]
	v_cmp_gt_i32_e32 vcc, 4, v1
	s_mov_b64 s[2:3], -1
	s_mov_b64 s[4:5], -1
	s_and_saveexec_b64 s[30:31], vcc
; %bb.43:                               ;   in Loop: Header=BB6_10 Depth=1
	v_cmp_eq_u32_e32 vcc, 0, v1
	s_orn2_b64 s[4:5], vcc, exec
; %bb.44:                               ;   in Loop: Header=BB6_10 Depth=1
	s_or_b64 exec, exec, s[30:31]
	s_and_saveexec_b64 s[30:31], s[4:5]
	s_cbranch_execz .LBB6_9
; %bb.45:                               ;   in Loop: Header=BB6_10 Depth=1
	v_add_u32_e32 v0, 64, v0
	v_cmp_le_i32_e32 vcc, s33, v0
	s_orn2_b64 s[2:3], vcc, exec
	s_branch .LBB6_9
.LBB6_46:
	s_or_b64 exec, exec, s[28:29]
	v_pk_mov_b32 v[2:3], v[8:9], v[8:9] op_sel:[0,1]
.LBB6_47:
	s_or_b64 exec, exec, s[22:23]
	s_nop 0
	v_mov_b32_dpp v0, v2 row_shr:1 row_mask:0xf bank_mask:0xf
	v_mov_b32_dpp v1, v3 row_shr:1 row_mask:0xf bank_mask:0xf
	v_pk_add_f32 v[0:1], v[2:3], v[0:1]
	s_cmp_lg_u32 s10, 0
	s_nop 0
	v_mov_b32_dpp v2, v0 row_shr:2 row_mask:0xf bank_mask:0xf
	v_mov_b32_dpp v3, v1 row_shr:2 row_mask:0xf bank_mask:0xf
	v_pk_add_f32 v[0:1], v[0:1], v[2:3]
	s_nop 1
	v_mov_b32_dpp v2, v0 row_shr:4 row_mask:0xf bank_mask:0xe
	v_mov_b32_dpp v3, v1 row_shr:4 row_mask:0xf bank_mask:0xe
	v_pk_add_f32 v[0:1], v[0:1], v[2:3]
	;; [unrolled: 4-line block ×3, first 2 shown]
	s_nop 1
	v_mov_b32_dpp v2, v0 row_bcast:15 row_mask:0xa bank_mask:0xf
	v_mov_b32_dpp v3, v1 row_bcast:15 row_mask:0xa bank_mask:0xf
	v_pk_add_f32 v[0:1], v[0:1], v[2:3]
	s_nop 1
	v_mov_b32_dpp v2, v0 row_bcast:31 row_mask:0xc bank_mask:0xf
	v_mov_b32_dpp v3, v1 row_bcast:31 row_mask:0xc bank_mask:0xf
	v_pk_add_f32 v[0:1], v[0:1], v[2:3]
	s_cbranch_scc0 .LBB6_51
; %bb.48:
	v_cmp_eq_u32_e32 vcc, 63, v10
	s_and_saveexec_b64 s[0:1], vcc
	s_cbranch_execz .LBB6_50
.LBB6_49:
	s_lshl_b64 s[0:1], s[6:7], 3
	s_add_u32 s0, s12, s0
	s_addc_u32 s1, s13, s1
	v_mov_b32_e32 v2, 0
	s_add_u32 s2, s14, s20
	s_addc_u32 s3, s15, s21
	global_store_dwordx2 v2, v[0:1], s[0:1] glc slc
	v_mov_b32_e32 v0, 1
	s_waitcnt vmcnt(0)
	global_store_dword v2, v0, s[2:3]
.LBB6_50:
	s_endpgm
.LBB6_51:
	s_lshl_b32 s0, s11, 3
	v_mov_b32_e32 v2, s0
	s_waitcnt lgkmcnt(0)
	ds_read_b64 v[2:3], v2
	s_waitcnt lgkmcnt(0)
	v_pk_mul_f32 v[4:5], v[2:3], v[0:1] op_sel:[1,1] op_sel_hi:[1,0] neg_lo:[0,1]
	v_pk_fma_f32 v[0:1], v[0:1], v[2:3], v[4:5] op_sel_hi:[1,0,1]
	v_cmp_eq_u32_e32 vcc, 63, v10
	s_and_saveexec_b64 s[0:1], vcc
	s_cbranch_execnz .LBB6_49
	s_branch .LBB6_50
	.section	.rodata,"a",@progbits
	.p2align	6, 0x0
	.amdhsa_kernel _ZN9rocsparseL12csrsv_kernelILj1024ELj64ELb1Eii21rocsparse_complex_numIfEEEvT3_NS_24const_host_device_scalarIT4_EEPKT2_PKS3_PKS5_SD_lPS5_PiSB_iPS3_21rocsparse_index_base_20rocsparse_fill_mode_20rocsparse_diag_type_b
		.amdhsa_group_segment_fixed_size 128
		.amdhsa_private_segment_fixed_size 0
		.amdhsa_kernarg_size 112
		.amdhsa_user_sgpr_count 6
		.amdhsa_user_sgpr_private_segment_buffer 1
		.amdhsa_user_sgpr_dispatch_ptr 0
		.amdhsa_user_sgpr_queue_ptr 0
		.amdhsa_user_sgpr_kernarg_segment_ptr 1
		.amdhsa_user_sgpr_dispatch_id 0
		.amdhsa_user_sgpr_flat_scratch_init 0
		.amdhsa_user_sgpr_kernarg_preload_length 0
		.amdhsa_user_sgpr_kernarg_preload_offset 0
		.amdhsa_user_sgpr_private_segment_size 0
		.amdhsa_uses_dynamic_stack 0
		.amdhsa_system_sgpr_private_segment_wavefront_offset 0
		.amdhsa_system_sgpr_workgroup_id_x 1
		.amdhsa_system_sgpr_workgroup_id_y 0
		.amdhsa_system_sgpr_workgroup_id_z 0
		.amdhsa_system_sgpr_workgroup_info 0
		.amdhsa_system_vgpr_workitem_id 0
		.amdhsa_next_free_vgpr 16
		.amdhsa_next_free_sgpr 40
		.amdhsa_accum_offset 16
		.amdhsa_reserve_vcc 1
		.amdhsa_reserve_flat_scratch 0
		.amdhsa_float_round_mode_32 0
		.amdhsa_float_round_mode_16_64 0
		.amdhsa_float_denorm_mode_32 3
		.amdhsa_float_denorm_mode_16_64 3
		.amdhsa_dx10_clamp 1
		.amdhsa_ieee_mode 1
		.amdhsa_fp16_overflow 0
		.amdhsa_tg_split 0
		.amdhsa_exception_fp_ieee_invalid_op 0
		.amdhsa_exception_fp_denorm_src 0
		.amdhsa_exception_fp_ieee_div_zero 0
		.amdhsa_exception_fp_ieee_overflow 0
		.amdhsa_exception_fp_ieee_underflow 0
		.amdhsa_exception_fp_ieee_inexact 0
		.amdhsa_exception_int_div_zero 0
	.end_amdhsa_kernel
	.section	.text._ZN9rocsparseL12csrsv_kernelILj1024ELj64ELb1Eii21rocsparse_complex_numIfEEEvT3_NS_24const_host_device_scalarIT4_EEPKT2_PKS3_PKS5_SD_lPS5_PiSB_iPS3_21rocsparse_index_base_20rocsparse_fill_mode_20rocsparse_diag_type_b,"axG",@progbits,_ZN9rocsparseL12csrsv_kernelILj1024ELj64ELb1Eii21rocsparse_complex_numIfEEEvT3_NS_24const_host_device_scalarIT4_EEPKT2_PKS3_PKS5_SD_lPS5_PiSB_iPS3_21rocsparse_index_base_20rocsparse_fill_mode_20rocsparse_diag_type_b,comdat
.Lfunc_end6:
	.size	_ZN9rocsparseL12csrsv_kernelILj1024ELj64ELb1Eii21rocsparse_complex_numIfEEEvT3_NS_24const_host_device_scalarIT4_EEPKT2_PKS3_PKS5_SD_lPS5_PiSB_iPS3_21rocsparse_index_base_20rocsparse_fill_mode_20rocsparse_diag_type_b, .Lfunc_end6-_ZN9rocsparseL12csrsv_kernelILj1024ELj64ELb1Eii21rocsparse_complex_numIfEEEvT3_NS_24const_host_device_scalarIT4_EEPKT2_PKS3_PKS5_SD_lPS5_PiSB_iPS3_21rocsparse_index_base_20rocsparse_fill_mode_20rocsparse_diag_type_b
                                        ; -- End function
	.section	.AMDGPU.csdata,"",@progbits
; Kernel info:
; codeLenInByte = 1680
; NumSgprs: 44
; NumVgprs: 16
; NumAgprs: 0
; TotalNumVgprs: 16
; ScratchSize: 0
; MemoryBound: 0
; FloatMode: 240
; IeeeMode: 1
; LDSByteSize: 128 bytes/workgroup (compile time only)
; SGPRBlocks: 5
; VGPRBlocks: 1
; NumSGPRsForWavesPerEU: 44
; NumVGPRsForWavesPerEU: 16
; AccumOffset: 16
; Occupancy: 8
; WaveLimiterHint : 1
; COMPUTE_PGM_RSRC2:SCRATCH_EN: 0
; COMPUTE_PGM_RSRC2:USER_SGPR: 6
; COMPUTE_PGM_RSRC2:TRAP_HANDLER: 0
; COMPUTE_PGM_RSRC2:TGID_X_EN: 1
; COMPUTE_PGM_RSRC2:TGID_Y_EN: 0
; COMPUTE_PGM_RSRC2:TGID_Z_EN: 0
; COMPUTE_PGM_RSRC2:TIDIG_COMP_CNT: 0
; COMPUTE_PGM_RSRC3_GFX90A:ACCUM_OFFSET: 3
; COMPUTE_PGM_RSRC3_GFX90A:TG_SPLIT: 0
	.section	.text._ZN9rocsparseL12csrsv_kernelILj1024ELj32ELb0Eii21rocsparse_complex_numIfEEEvT3_NS_24const_host_device_scalarIT4_EEPKT2_PKS3_PKS5_SD_lPS5_PiSB_iPS3_21rocsparse_index_base_20rocsparse_fill_mode_20rocsparse_diag_type_b,"axG",@progbits,_ZN9rocsparseL12csrsv_kernelILj1024ELj32ELb0Eii21rocsparse_complex_numIfEEEvT3_NS_24const_host_device_scalarIT4_EEPKT2_PKS3_PKS5_SD_lPS5_PiSB_iPS3_21rocsparse_index_base_20rocsparse_fill_mode_20rocsparse_diag_type_b,comdat
	.globl	_ZN9rocsparseL12csrsv_kernelILj1024ELj32ELb0Eii21rocsparse_complex_numIfEEEvT3_NS_24const_host_device_scalarIT4_EEPKT2_PKS3_PKS5_SD_lPS5_PiSB_iPS3_21rocsparse_index_base_20rocsparse_fill_mode_20rocsparse_diag_type_b ; -- Begin function _ZN9rocsparseL12csrsv_kernelILj1024ELj32ELb0Eii21rocsparse_complex_numIfEEEvT3_NS_24const_host_device_scalarIT4_EEPKT2_PKS3_PKS5_SD_lPS5_PiSB_iPS3_21rocsparse_index_base_20rocsparse_fill_mode_20rocsparse_diag_type_b
	.p2align	8
	.type	_ZN9rocsparseL12csrsv_kernelILj1024ELj32ELb0Eii21rocsparse_complex_numIfEEEvT3_NS_24const_host_device_scalarIT4_EEPKT2_PKS3_PKS5_SD_lPS5_PiSB_iPS3_21rocsparse_index_base_20rocsparse_fill_mode_20rocsparse_diag_type_b,@function
_ZN9rocsparseL12csrsv_kernelILj1024ELj32ELb0Eii21rocsparse_complex_numIfEEEvT3_NS_24const_host_device_scalarIT4_EEPKT2_PKS3_PKS5_SD_lPS5_PiSB_iPS3_21rocsparse_index_base_20rocsparse_fill_mode_20rocsparse_diag_type_b: ; @_ZN9rocsparseL12csrsv_kernelILj1024ELj32ELb0Eii21rocsparse_complex_numIfEEEvT3_NS_24const_host_device_scalarIT4_EEPKT2_PKS3_PKS5_SD_lPS5_PiSB_iPS3_21rocsparse_index_base_20rocsparse_fill_mode_20rocsparse_diag_type_b
; %bb.0:
	s_load_dwordx4 s[8:11], s[4:5], 0x60
	s_load_dwordx2 s[0:1], s[4:5], 0x8
	s_waitcnt lgkmcnt(0)
	s_bitcmp1_b32 s11, 0
	s_cselect_b64 s[2:3], -1, 0
	s_xor_b64 s[12:13], s[2:3], -1
	s_and_b64 vcc, exec, s[2:3]
	s_mov_b32 s2, s0
	s_cbranch_vccnz .LBB7_2
; %bb.1:
	s_load_dword s2, s[0:1], 0x0
.LBB7_2:
	s_andn2_b64 vcc, exec, s[12:13]
	s_cbranch_vccnz .LBB7_4
; %bb.3:
	s_load_dword s1, s[0:1], 0x4
.LBB7_4:
	s_nop 0
	s_load_dword s3, s[4:5], 0x0
	v_lshrrev_b32_e32 v1, 5, v0
	v_readfirstlane_b32 s11, v1
	s_lshl_b32 s0, s6, 5
	s_add_i32 s0, s11, s0
	s_waitcnt lgkmcnt(0)
	s_cmp_ge_i32 s0, s3
	s_cbranch_scc1 .LBB7_48
; %bb.5:
	s_load_dword s3, s[4:5], 0x50
	s_load_dwordx2 s[6:7], s[4:5], 0x48
	v_and_b32_e32 v10, 31, v0
	v_cmp_eq_u32_e32 vcc, 0, v10
	s_waitcnt lgkmcnt(0)
	s_add_i32 s12, s0, s3
	s_ashr_i32 s13, s12, 31
	s_lshl_b64 s[12:13], s[12:13], 2
	s_add_u32 s16, s6, s12
	s_addc_u32 s17, s7, s13
	s_load_dword s6, s[16:17], 0x0
	s_load_dwordx2 s[18:19], s[4:5], 0x10
	s_load_dwordx4 s[12:15], s[4:5], 0x38
	s_waitcnt lgkmcnt(0)
	s_ashr_i32 s7, s6, 31
	s_lshl_b64 s[20:21], s[6:7], 2
	s_add_u32 s16, s18, s20
	s_addc_u32 s17, s19, s21
	s_load_dwordx2 s[16:17], s[16:17], 0x0
	s_mov_b32 s18, 0
	s_mov_b32 s19, s18
	v_pk_mov_b32 v[2:3], s[18:19], s[18:19] op_sel:[0,1]
	s_and_saveexec_b64 s[18:19], vcc
	s_cbranch_execz .LBB7_7
; %bb.6:
	s_load_dwordx4 s[24:27], s[4:5], 0x28
	v_mov_b32_e32 v1, s2
	s_waitcnt lgkmcnt(0)
	s_mul_i32 s0, s6, s27
	s_mul_hi_u32 s3, s6, s26
	s_mul_i32 s23, s7, s26
	s_add_i32 s0, s3, s0
	s_mul_i32 s22, s6, s26
	s_add_i32 s23, s0, s23
	s_lshl_b64 s[22:23], s[22:23], 3
	s_add_u32 s22, s24, s22
	s_addc_u32 s23, s25, s23
	s_load_dwordx2 s[22:23], s[22:23], 0x0
	s_xor_b32 s0, s1, 0x80000000
	v_mov_b32_e32 v0, s0
	s_mov_b32 s3, s1
	s_waitcnt lgkmcnt(0)
	v_pk_mul_f32 v[0:1], s[22:23], v[0:1] op_sel:[1,0]
	v_pk_mov_b32 v[2:3], s[22:23], s[22:23] op_sel:[0,1]
	v_pk_fma_f32 v[2:3], s[2:3], v[2:3], v[0:1] op_sel_hi:[1,0,1]
.LBB7_7:
	s_or_b64 exec, exec, s[18:19]
	v_subrev_u32_e32 v0, s8, v10
	s_waitcnt lgkmcnt(0)
	s_sub_i32 s33, s17, s8
	v_add_u32_e32 v0, s16, v0
	v_cmp_gt_i32_e32 vcc, s33, v0
	s_and_saveexec_b64 s[22:23], vcc
	s_cbranch_execz .LBB7_45
; %bb.8:
	s_load_dwordx2 s[24:25], s[4:5], 0x58
	s_load_dwordx4 s[16:19], s[4:5], 0x18
	s_cmp_eq_u32 s10, 0
	s_cselect_b64 s[26:27], -1, 0
	v_cndmask_b32_e64 v1, 0, 1, s[26:27]
	s_add_i32 s38, s6, s8
	s_lshl_b32 s39, s11, 3
	s_mov_b64 s[28:29], 0
	s_waitcnt lgkmcnt(0)
	v_mov_b32_e32 v11, s17
	v_mov_b32_e32 v12, s19
	;; [unrolled: 1-line block ×3, first 2 shown]
	v_cmp_ne_u32_e64 s[0:1], 1, v1
	s_branch .LBB7_10
.LBB7_9:                                ;   in Loop: Header=BB7_10 Depth=1
	s_or_b64 exec, exec, s[30:31]
	s_and_b64 s[2:3], exec, s[2:3]
	s_or_b64 s[28:29], s[2:3], s[28:29]
	v_pk_mov_b32 v[2:3], v[8:9], v[8:9] op_sel:[0,1]
	s_andn2_b64 exec, exec, s[28:29]
	s_cbranch_execz .LBB7_44
.LBB7_10:                               ; =>This Loop Header: Depth=1
                                        ;     Child Loop BB7_35 Depth 2
	v_ashrrev_i32_e32 v1, 31, v0
	v_lshlrev_b64 v[4:5], 2, v[0:1]
	v_add_co_u32_e32 v4, vcc, s16, v4
	v_addc_co_u32_e32 v5, vcc, v11, v5, vcc
	global_load_dword v6, v[4:5], off glc slc
	v_lshlrev_b64 v[4:5], 3, v[0:1]
	v_add_co_u32_e32 v4, vcc, s18, v4
	v_addc_co_u32_e32 v5, vcc, v12, v5, vcc
	global_load_dwordx2 v[4:5], v[4:5], off glc slc
	s_waitcnt vmcnt(1)
	v_subrev_u32_e32 v6, s8, v6
	s_waitcnt vmcnt(0)
	v_cmp_eq_f32_e32 vcc, 0, v4
	v_cmp_eq_f32_e64 s[2:3], 0, v5
	s_and_b64 s[2:3], vcc, s[2:3]
	v_cmp_eq_u32_e32 vcc, s6, v6
	s_and_b64 s[2:3], s[2:3], vcc
	s_and_b64 s[2:3], s[26:27], s[2:3]
	s_and_saveexec_b64 s[4:5], s[2:3]
	s_cbranch_execz .LBB7_14
; %bb.11:                               ;   in Loop: Header=BB7_10 Depth=1
	v_mbcnt_lo_u32_b32 v1, exec_lo, 0
	v_mbcnt_hi_u32_b32 v1, exec_hi, v1
	v_cmp_eq_u32_e64 s[2:3], 0, v1
	s_and_saveexec_b64 s[30:31], s[2:3]
	s_cbranch_execz .LBB7_13
; %bb.12:                               ;   in Loop: Header=BB7_10 Depth=1
	v_mov_b32_e32 v1, s38
	global_atomic_smin v13, v1, s[24:25]
.LBB7_13:                               ;   in Loop: Header=BB7_10 Depth=1
	s_or_b64 exec, exec, s[30:31]
	v_mov_b32_e32 v4, 1.0
	v_mov_b32_e32 v5, 0
.LBB7_14:                               ;   in Loop: Header=BB7_10 Depth=1
	s_or_b64 exec, exec, s[4:5]
	v_cmp_ne_u32_e64 s[2:3], s6, v6
	s_cmp_lt_i32 s9, 1
	s_mov_b64 s[30:31], 0
	s_cbranch_scc1 .LBB7_23
; %bb.15:                               ;   in Loop: Header=BB7_10 Depth=1
	s_cmp_eq_u32 s9, 1
	s_cbranch_scc0 .LBB7_24
; %bb.16:                               ;   in Loop: Header=BB7_10 Depth=1
	v_cmp_le_i32_e64 s[4:5], s6, v6
	s_mov_b64 s[34:35], 0
	s_and_saveexec_b64 s[36:37], s[4:5]
	s_cbranch_execz .LBB7_22
; %bb.17:                               ;   in Loop: Header=BB7_10 Depth=1
	s_mov_b64 s[34:35], -1
	s_and_saveexec_b64 s[4:5], vcc
	s_xor_b64 s[4:5], exec, s[4:5]
	s_cbranch_execz .LBB7_21
; %bb.18:                               ;   in Loop: Header=BB7_10 Depth=1
	s_and_b64 vcc, exec, s[0:1]
	s_cbranch_vccnz .LBB7_20
; %bb.19:                               ;   in Loop: Header=BB7_10 Depth=1
	v_mul_f32_e32 v1, v5, v5
	v_fmac_f32_e32 v1, v4, v4
	v_div_scale_f32 v7, s[34:35], v1, v1, 1.0
	v_rcp_f32_e32 v8, v7
	v_div_scale_f32 v9, vcc, 1.0, v1, 1.0
	v_fma_f32 v14, -v7, v8, 1.0
	v_fmac_f32_e32 v8, v14, v8
	v_mul_f32_e32 v14, v9, v8
	v_fma_f32 v15, -v7, v14, v9
	v_fmac_f32_e32 v14, v15, v8
	v_fma_f32 v7, -v7, v14, v9
	v_div_fmas_f32 v7, v7, v8, v14
	v_div_fixup_f32 v8, v7, v1, 1.0
	v_fma_f32 v14, 0, v5, v4
	v_fma_f32 v15, v4, 0, -v5
	v_pk_mul_f32 v[8:9], v[14:15], v[8:9] op_sel_hi:[1,0]
	v_mov_b32_e32 v1, s39
	ds_write_b64 v1, v[8:9]
.LBB7_20:                               ;   in Loop: Header=BB7_10 Depth=1
	s_xor_b64 s[34:35], exec, -1
.LBB7_21:                               ;   in Loop: Header=BB7_10 Depth=1
	s_or_b64 exec, exec, s[4:5]
	s_and_b64 s[34:35], s[34:35], exec
.LBB7_22:                               ;   in Loop: Header=BB7_10 Depth=1
	s_or_b64 exec, exec, s[36:37]
	s_mov_b32 s17, 4
	v_pk_mov_b32 v[8:9], v[2:3], v[2:3] op_sel:[0,1]
	s_branch .LBB7_25
.LBB7_23:                               ;   in Loop: Header=BB7_10 Depth=1
	s_mov_b64 s[34:35], 0
                                        ; implicit-def: $vgpr8_vgpr9
                                        ; implicit-def: $sgpr17
	s_cbranch_execnz .LBB7_26
	s_branch .LBB7_28
.LBB7_24:                               ;   in Loop: Header=BB7_10 Depth=1
	s_mov_b64 s[34:35], -1
                                        ; implicit-def: $vgpr8_vgpr9
                                        ; implicit-def: $sgpr17
.LBB7_25:                               ;   in Loop: Header=BB7_10 Depth=1
	s_branch .LBB7_28
.LBB7_26:                               ;   in Loop: Header=BB7_10 Depth=1
	s_cmp_eq_u32 s9, 0
	s_cbranch_scc1 .LBB7_30
; %bb.27:                               ;   in Loop: Header=BB7_10 Depth=1
	s_mov_b64 s[34:35], -1
                                        ; implicit-def: $vgpr8_vgpr9
                                        ; implicit-def: $sgpr17
.LBB7_28:                               ;   in Loop: Header=BB7_10 Depth=1
	v_mov_b32_e32 v1, s17
	s_and_saveexec_b64 s[2:3], s[34:35]
	s_cbranch_execnz .LBB7_33
.LBB7_29:                               ;   in Loop: Header=BB7_10 Depth=1
	s_or_b64 exec, exec, s[2:3]
	s_and_saveexec_b64 s[2:3], s[30:31]
	s_cbranch_execnz .LBB7_37
	s_branch .LBB7_40
.LBB7_30:                               ;   in Loop: Header=BB7_10 Depth=1
	v_cmp_ge_i32_e32 vcc, s6, v6
	s_mov_b64 s[34:35], 0
	s_and_saveexec_b64 s[4:5], vcc
; %bb.31:                               ;   in Loop: Header=BB7_10 Depth=1
	s_mov_b64 s[30:31], exec
	s_and_b64 s[34:35], s[2:3], exec
; %bb.32:                               ;   in Loop: Header=BB7_10 Depth=1
	s_or_b64 exec, exec, s[4:5]
	s_mov_b32 s17, 2
	v_pk_mov_b32 v[8:9], v[2:3], v[2:3] op_sel:[0,1]
	v_mov_b32_e32 v1, s17
	s_and_saveexec_b64 s[2:3], s[34:35]
	s_cbranch_execz .LBB7_29
.LBB7_33:                               ;   in Loop: Header=BB7_10 Depth=1
	v_ashrrev_i32_e32 v7, 31, v6
	v_lshlrev_b64 v[8:9], 2, v[6:7]
	v_mov_b32_e32 v1, s15
	v_add_co_u32_e32 v8, vcc, s14, v8
	v_addc_co_u32_e32 v9, vcc, v1, v9, vcc
	global_load_dword v1, v[8:9], off glc
	s_waitcnt vmcnt(0)
	v_cmp_eq_u32_e32 vcc, 0, v1
	s_and_saveexec_b64 s[4:5], vcc
	s_cbranch_execz .LBB7_36
; %bb.34:                               ;   in Loop: Header=BB7_10 Depth=1
	s_mov_b64 s[34:35], 0
.LBB7_35:                               ;   Parent Loop BB7_10 Depth=1
                                        ; =>  This Inner Loop Header: Depth=2
	global_load_dword v1, v[8:9], off glc
	s_waitcnt vmcnt(0)
	v_cmp_ne_u32_e32 vcc, 0, v1
	s_or_b64 s[34:35], vcc, s[34:35]
	s_andn2_b64 exec, exec, s[34:35]
	s_cbranch_execnz .LBB7_35
.LBB7_36:                               ;   in Loop: Header=BB7_10 Depth=1
	s_or_b64 exec, exec, s[4:5]
	v_lshlrev_b64 v[6:7], 3, v[6:7]
	v_mov_b32_e32 v1, s13
	v_add_co_u32_e32 v6, vcc, s12, v6
	v_addc_co_u32_e32 v7, vcc, v1, v7, vcc
	s_waitcnt lgkmcnt(0)
	buffer_wbinvl1_vol
	global_load_dwordx2 v[6:7], v[6:7], off
	v_mov_b32_e32 v1, 0
	s_andn2_b64 s[30:31], s[30:31], exec
	s_waitcnt vmcnt(0)
	v_pk_fma_f32 v[8:9], v[4:5], v[6:7], v[2:3] op_sel_hi:[1,0,1] neg_lo:[1,0,0] neg_hi:[1,0,0]
	v_pk_fma_f32 v[8:9], v[4:5], v[6:7], v[8:9] op_sel:[1,1,0] op_sel_hi:[0,1,1] neg_hi:[1,0,0]
	s_or_b64 exec, exec, s[2:3]
	s_and_saveexec_b64 s[2:3], s[30:31]
	s_cbranch_execz .LBB7_40
.LBB7_37:                               ;   in Loop: Header=BB7_10 Depth=1
	s_and_b64 vcc, exec, s[0:1]
	s_cbranch_vccnz .LBB7_39
; %bb.38:                               ;   in Loop: Header=BB7_10 Depth=1
	v_mul_f32_e32 v1, v5, v5
	v_fmac_f32_e32 v1, v4, v4
	v_div_scale_f32 v6, s[4:5], v1, v1, 1.0
	v_rcp_f32_e32 v7, v6
	v_div_scale_f32 v8, vcc, 1.0, v1, 1.0
	v_fma_f32 v9, -v6, v7, 1.0
	v_fmac_f32_e32 v7, v9, v7
	v_mul_f32_e32 v9, v8, v7
	v_fma_f32 v14, -v6, v9, v8
	v_fmac_f32_e32 v9, v14, v7
	v_fma_f32 v6, -v6, v9, v8
	v_div_fmas_f32 v6, v6, v7, v9
	v_div_fixup_f32 v6, v6, v1, 1.0
	v_fma_f32 v8, 0, v5, v4
	v_fma_f32 v9, v4, 0, -v5
	v_pk_mul_f32 v[4:5], v[8:9], v[6:7] op_sel_hi:[1,0]
	v_mov_b32_e32 v1, s39
	ds_write_b64 v1, v[4:5]
.LBB7_39:                               ;   in Loop: Header=BB7_10 Depth=1
	v_mov_b32_e32 v1, 2
	v_pk_mov_b32 v[8:9], v[2:3], v[2:3] op_sel:[0,1]
.LBB7_40:                               ;   in Loop: Header=BB7_10 Depth=1
	s_or_b64 exec, exec, s[2:3]
	v_cmp_gt_i32_e32 vcc, 4, v1
	s_mov_b64 s[2:3], -1
	s_mov_b64 s[4:5], -1
	s_and_saveexec_b64 s[30:31], vcc
; %bb.41:                               ;   in Loop: Header=BB7_10 Depth=1
	v_cmp_eq_u32_e32 vcc, 0, v1
	s_orn2_b64 s[4:5], vcc, exec
; %bb.42:                               ;   in Loop: Header=BB7_10 Depth=1
	s_or_b64 exec, exec, s[30:31]
	s_and_saveexec_b64 s[30:31], s[4:5]
	s_cbranch_execz .LBB7_9
; %bb.43:                               ;   in Loop: Header=BB7_10 Depth=1
	v_add_u32_e32 v0, 32, v0
	v_cmp_le_i32_e32 vcc, s33, v0
	s_orn2_b64 s[2:3], vcc, exec
	s_branch .LBB7_9
.LBB7_44:
	s_or_b64 exec, exec, s[28:29]
	v_pk_mov_b32 v[2:3], v[8:9], v[8:9] op_sel:[0,1]
.LBB7_45:
	s_or_b64 exec, exec, s[22:23]
	s_nop 0
	v_mov_b32_dpp v0, v2 row_shr:1 row_mask:0xf bank_mask:0xf
	v_mov_b32_dpp v1, v3 row_shr:1 row_mask:0xf bank_mask:0xf
	v_pk_add_f32 v[0:1], v[2:3], v[0:1]
	s_cmp_lg_u32 s10, 0
	s_nop 0
	v_mov_b32_dpp v2, v0 row_shr:2 row_mask:0xf bank_mask:0xf
	v_mov_b32_dpp v3, v1 row_shr:2 row_mask:0xf bank_mask:0xf
	v_pk_add_f32 v[0:1], v[0:1], v[2:3]
	s_nop 1
	v_mov_b32_dpp v2, v0 row_shr:4 row_mask:0xf bank_mask:0xe
	v_mov_b32_dpp v3, v1 row_shr:4 row_mask:0xf bank_mask:0xe
	v_pk_add_f32 v[0:1], v[0:1], v[2:3]
	;; [unrolled: 4-line block ×3, first 2 shown]
	s_nop 1
	v_mov_b32_dpp v2, v0 row_bcast:15 row_mask:0xa bank_mask:0xf
	v_mov_b32_dpp v3, v1 row_bcast:15 row_mask:0xa bank_mask:0xf
	v_pk_add_f32 v[0:1], v[0:1], v[2:3]
	s_cbranch_scc0 .LBB7_49
; %bb.46:
	v_cmp_eq_u32_e32 vcc, 31, v10
	s_and_saveexec_b64 s[0:1], vcc
	s_cbranch_execz .LBB7_48
.LBB7_47:
	s_lshl_b64 s[0:1], s[6:7], 3
	s_add_u32 s0, s12, s0
	s_addc_u32 s1, s13, s1
	v_mov_b32_e32 v2, 0
	s_add_u32 s2, s14, s20
	s_addc_u32 s3, s15, s21
	global_store_dwordx2 v2, v[0:1], s[0:1] glc slc
	v_mov_b32_e32 v0, 1
	s_waitcnt vmcnt(0)
	global_store_dword v2, v0, s[2:3]
.LBB7_48:
	s_endpgm
.LBB7_49:
	s_lshl_b32 s0, s11, 3
	v_mov_b32_e32 v2, s0
	s_waitcnt lgkmcnt(0)
	ds_read_b64 v[2:3], v2
	s_waitcnt lgkmcnt(0)
	v_pk_mul_f32 v[4:5], v[2:3], v[0:1] op_sel:[1,1] op_sel_hi:[1,0] neg_lo:[0,1]
	v_pk_fma_f32 v[0:1], v[0:1], v[2:3], v[4:5] op_sel_hi:[1,0,1]
	v_cmp_eq_u32_e32 vcc, 31, v10
	s_and_saveexec_b64 s[0:1], vcc
	s_cbranch_execnz .LBB7_47
	s_branch .LBB7_48
	.section	.rodata,"a",@progbits
	.p2align	6, 0x0
	.amdhsa_kernel _ZN9rocsparseL12csrsv_kernelILj1024ELj32ELb0Eii21rocsparse_complex_numIfEEEvT3_NS_24const_host_device_scalarIT4_EEPKT2_PKS3_PKS5_SD_lPS5_PiSB_iPS3_21rocsparse_index_base_20rocsparse_fill_mode_20rocsparse_diag_type_b
		.amdhsa_group_segment_fixed_size 256
		.amdhsa_private_segment_fixed_size 0
		.amdhsa_kernarg_size 112
		.amdhsa_user_sgpr_count 6
		.amdhsa_user_sgpr_private_segment_buffer 1
		.amdhsa_user_sgpr_dispatch_ptr 0
		.amdhsa_user_sgpr_queue_ptr 0
		.amdhsa_user_sgpr_kernarg_segment_ptr 1
		.amdhsa_user_sgpr_dispatch_id 0
		.amdhsa_user_sgpr_flat_scratch_init 0
		.amdhsa_user_sgpr_kernarg_preload_length 0
		.amdhsa_user_sgpr_kernarg_preload_offset 0
		.amdhsa_user_sgpr_private_segment_size 0
		.amdhsa_uses_dynamic_stack 0
		.amdhsa_system_sgpr_private_segment_wavefront_offset 0
		.amdhsa_system_sgpr_workgroup_id_x 1
		.amdhsa_system_sgpr_workgroup_id_y 0
		.amdhsa_system_sgpr_workgroup_id_z 0
		.amdhsa_system_sgpr_workgroup_info 0
		.amdhsa_system_vgpr_workitem_id 0
		.amdhsa_next_free_vgpr 16
		.amdhsa_next_free_sgpr 40
		.amdhsa_accum_offset 16
		.amdhsa_reserve_vcc 1
		.amdhsa_reserve_flat_scratch 0
		.amdhsa_float_round_mode_32 0
		.amdhsa_float_round_mode_16_64 0
		.amdhsa_float_denorm_mode_32 3
		.amdhsa_float_denorm_mode_16_64 3
		.amdhsa_dx10_clamp 1
		.amdhsa_ieee_mode 1
		.amdhsa_fp16_overflow 0
		.amdhsa_tg_split 0
		.amdhsa_exception_fp_ieee_invalid_op 0
		.amdhsa_exception_fp_denorm_src 0
		.amdhsa_exception_fp_ieee_div_zero 0
		.amdhsa_exception_fp_ieee_overflow 0
		.amdhsa_exception_fp_ieee_underflow 0
		.amdhsa_exception_fp_ieee_inexact 0
		.amdhsa_exception_int_div_zero 0
	.end_amdhsa_kernel
	.section	.text._ZN9rocsparseL12csrsv_kernelILj1024ELj32ELb0Eii21rocsparse_complex_numIfEEEvT3_NS_24const_host_device_scalarIT4_EEPKT2_PKS3_PKS5_SD_lPS5_PiSB_iPS3_21rocsparse_index_base_20rocsparse_fill_mode_20rocsparse_diag_type_b,"axG",@progbits,_ZN9rocsparseL12csrsv_kernelILj1024ELj32ELb0Eii21rocsparse_complex_numIfEEEvT3_NS_24const_host_device_scalarIT4_EEPKT2_PKS3_PKS5_SD_lPS5_PiSB_iPS3_21rocsparse_index_base_20rocsparse_fill_mode_20rocsparse_diag_type_b,comdat
.Lfunc_end7:
	.size	_ZN9rocsparseL12csrsv_kernelILj1024ELj32ELb0Eii21rocsparse_complex_numIfEEEvT3_NS_24const_host_device_scalarIT4_EEPKT2_PKS3_PKS5_SD_lPS5_PiSB_iPS3_21rocsparse_index_base_20rocsparse_fill_mode_20rocsparse_diag_type_b, .Lfunc_end7-_ZN9rocsparseL12csrsv_kernelILj1024ELj32ELb0Eii21rocsparse_complex_numIfEEEvT3_NS_24const_host_device_scalarIT4_EEPKT2_PKS3_PKS5_SD_lPS5_PiSB_iPS3_21rocsparse_index_base_20rocsparse_fill_mode_20rocsparse_diag_type_b
                                        ; -- End function
	.section	.AMDGPU.csdata,"",@progbits
; Kernel info:
; codeLenInByte = 1596
; NumSgprs: 44
; NumVgprs: 16
; NumAgprs: 0
; TotalNumVgprs: 16
; ScratchSize: 0
; MemoryBound: 0
; FloatMode: 240
; IeeeMode: 1
; LDSByteSize: 256 bytes/workgroup (compile time only)
; SGPRBlocks: 5
; VGPRBlocks: 1
; NumSGPRsForWavesPerEU: 44
; NumVGPRsForWavesPerEU: 16
; AccumOffset: 16
; Occupancy: 8
; WaveLimiterHint : 1
; COMPUTE_PGM_RSRC2:SCRATCH_EN: 0
; COMPUTE_PGM_RSRC2:USER_SGPR: 6
; COMPUTE_PGM_RSRC2:TRAP_HANDLER: 0
; COMPUTE_PGM_RSRC2:TGID_X_EN: 1
; COMPUTE_PGM_RSRC2:TGID_Y_EN: 0
; COMPUTE_PGM_RSRC2:TGID_Z_EN: 0
; COMPUTE_PGM_RSRC2:TIDIG_COMP_CNT: 0
; COMPUTE_PGM_RSRC3_GFX90A:ACCUM_OFFSET: 3
; COMPUTE_PGM_RSRC3_GFX90A:TG_SPLIT: 0
	.section	.text._ZN9rocsparseL12csrsv_kernelILj1024ELj64ELb0Eii21rocsparse_complex_numIfEEEvT3_NS_24const_host_device_scalarIT4_EEPKT2_PKS3_PKS5_SD_lPS5_PiSB_iPS3_21rocsparse_index_base_20rocsparse_fill_mode_20rocsparse_diag_type_b,"axG",@progbits,_ZN9rocsparseL12csrsv_kernelILj1024ELj64ELb0Eii21rocsparse_complex_numIfEEEvT3_NS_24const_host_device_scalarIT4_EEPKT2_PKS3_PKS5_SD_lPS5_PiSB_iPS3_21rocsparse_index_base_20rocsparse_fill_mode_20rocsparse_diag_type_b,comdat
	.globl	_ZN9rocsparseL12csrsv_kernelILj1024ELj64ELb0Eii21rocsparse_complex_numIfEEEvT3_NS_24const_host_device_scalarIT4_EEPKT2_PKS3_PKS5_SD_lPS5_PiSB_iPS3_21rocsparse_index_base_20rocsparse_fill_mode_20rocsparse_diag_type_b ; -- Begin function _ZN9rocsparseL12csrsv_kernelILj1024ELj64ELb0Eii21rocsparse_complex_numIfEEEvT3_NS_24const_host_device_scalarIT4_EEPKT2_PKS3_PKS5_SD_lPS5_PiSB_iPS3_21rocsparse_index_base_20rocsparse_fill_mode_20rocsparse_diag_type_b
	.p2align	8
	.type	_ZN9rocsparseL12csrsv_kernelILj1024ELj64ELb0Eii21rocsparse_complex_numIfEEEvT3_NS_24const_host_device_scalarIT4_EEPKT2_PKS3_PKS5_SD_lPS5_PiSB_iPS3_21rocsparse_index_base_20rocsparse_fill_mode_20rocsparse_diag_type_b,@function
_ZN9rocsparseL12csrsv_kernelILj1024ELj64ELb0Eii21rocsparse_complex_numIfEEEvT3_NS_24const_host_device_scalarIT4_EEPKT2_PKS3_PKS5_SD_lPS5_PiSB_iPS3_21rocsparse_index_base_20rocsparse_fill_mode_20rocsparse_diag_type_b: ; @_ZN9rocsparseL12csrsv_kernelILj1024ELj64ELb0Eii21rocsparse_complex_numIfEEEvT3_NS_24const_host_device_scalarIT4_EEPKT2_PKS3_PKS5_SD_lPS5_PiSB_iPS3_21rocsparse_index_base_20rocsparse_fill_mode_20rocsparse_diag_type_b
; %bb.0:
	s_load_dwordx4 s[8:11], s[4:5], 0x60
	s_load_dwordx2 s[0:1], s[4:5], 0x8
	s_waitcnt lgkmcnt(0)
	s_bitcmp1_b32 s11, 0
	s_cselect_b64 s[2:3], -1, 0
	s_xor_b64 s[12:13], s[2:3], -1
	s_and_b64 vcc, exec, s[2:3]
	s_mov_b32 s2, s0
	s_cbranch_vccnz .LBB8_2
; %bb.1:
	s_load_dword s2, s[0:1], 0x0
.LBB8_2:
	s_andn2_b64 vcc, exec, s[12:13]
	s_cbranch_vccnz .LBB8_4
; %bb.3:
	s_load_dword s1, s[0:1], 0x4
.LBB8_4:
	s_nop 0
	s_load_dword s3, s[4:5], 0x0
	v_lshrrev_b32_e32 v1, 6, v0
	v_readfirstlane_b32 s11, v1
	s_lshl_b32 s0, s6, 4
	s_add_i32 s0, s11, s0
	s_waitcnt lgkmcnt(0)
	s_cmp_ge_i32 s0, s3
	s_cbranch_scc1 .LBB8_48
; %bb.5:
	s_load_dword s3, s[4:5], 0x50
	s_load_dwordx2 s[6:7], s[4:5], 0x48
	v_and_b32_e32 v10, 63, v0
	v_cmp_eq_u32_e32 vcc, 0, v10
	s_waitcnt lgkmcnt(0)
	s_add_i32 s12, s0, s3
	s_ashr_i32 s13, s12, 31
	s_lshl_b64 s[12:13], s[12:13], 2
	s_add_u32 s16, s6, s12
	s_addc_u32 s17, s7, s13
	s_load_dword s6, s[16:17], 0x0
	s_load_dwordx2 s[18:19], s[4:5], 0x10
	s_load_dwordx4 s[12:15], s[4:5], 0x38
	s_waitcnt lgkmcnt(0)
	s_ashr_i32 s7, s6, 31
	s_lshl_b64 s[20:21], s[6:7], 2
	s_add_u32 s16, s18, s20
	s_addc_u32 s17, s19, s21
	s_load_dwordx2 s[16:17], s[16:17], 0x0
	s_mov_b32 s18, 0
	s_mov_b32 s19, s18
	v_pk_mov_b32 v[2:3], s[18:19], s[18:19] op_sel:[0,1]
	s_and_saveexec_b64 s[18:19], vcc
	s_cbranch_execz .LBB8_7
; %bb.6:
	s_load_dwordx4 s[24:27], s[4:5], 0x28
	v_mov_b32_e32 v1, s2
	s_waitcnt lgkmcnt(0)
	s_mul_i32 s0, s6, s27
	s_mul_hi_u32 s3, s6, s26
	s_mul_i32 s23, s7, s26
	s_add_i32 s0, s3, s0
	s_mul_i32 s22, s6, s26
	s_add_i32 s23, s0, s23
	s_lshl_b64 s[22:23], s[22:23], 3
	s_add_u32 s22, s24, s22
	s_addc_u32 s23, s25, s23
	s_load_dwordx2 s[22:23], s[22:23], 0x0
	s_xor_b32 s0, s1, 0x80000000
	v_mov_b32_e32 v0, s0
	s_mov_b32 s3, s1
	s_waitcnt lgkmcnt(0)
	v_pk_mul_f32 v[0:1], s[22:23], v[0:1] op_sel:[1,0]
	v_pk_mov_b32 v[2:3], s[22:23], s[22:23] op_sel:[0,1]
	v_pk_fma_f32 v[2:3], s[2:3], v[2:3], v[0:1] op_sel_hi:[1,0,1]
.LBB8_7:
	s_or_b64 exec, exec, s[18:19]
	v_subrev_u32_e32 v0, s8, v10
	s_waitcnt lgkmcnt(0)
	s_sub_i32 s33, s17, s8
	v_add_u32_e32 v0, s16, v0
	v_cmp_gt_i32_e32 vcc, s33, v0
	s_and_saveexec_b64 s[22:23], vcc
	s_cbranch_execz .LBB8_45
; %bb.8:
	s_load_dwordx2 s[24:25], s[4:5], 0x58
	s_load_dwordx4 s[16:19], s[4:5], 0x18
	s_cmp_eq_u32 s10, 0
	s_cselect_b64 s[26:27], -1, 0
	v_cndmask_b32_e64 v1, 0, 1, s[26:27]
	s_add_i32 s38, s6, s8
	s_lshl_b32 s39, s11, 3
	s_mov_b64 s[28:29], 0
	s_waitcnt lgkmcnt(0)
	v_mov_b32_e32 v11, s17
	v_mov_b32_e32 v12, s19
	;; [unrolled: 1-line block ×3, first 2 shown]
	v_cmp_ne_u32_e64 s[0:1], 1, v1
	s_branch .LBB8_10
.LBB8_9:                                ;   in Loop: Header=BB8_10 Depth=1
	s_or_b64 exec, exec, s[30:31]
	s_and_b64 s[2:3], exec, s[2:3]
	s_or_b64 s[28:29], s[2:3], s[28:29]
	v_pk_mov_b32 v[2:3], v[8:9], v[8:9] op_sel:[0,1]
	s_andn2_b64 exec, exec, s[28:29]
	s_cbranch_execz .LBB8_44
.LBB8_10:                               ; =>This Loop Header: Depth=1
                                        ;     Child Loop BB8_35 Depth 2
	v_ashrrev_i32_e32 v1, 31, v0
	v_lshlrev_b64 v[4:5], 2, v[0:1]
	v_add_co_u32_e32 v4, vcc, s16, v4
	v_addc_co_u32_e32 v5, vcc, v11, v5, vcc
	global_load_dword v6, v[4:5], off glc slc
	v_lshlrev_b64 v[4:5], 3, v[0:1]
	v_add_co_u32_e32 v4, vcc, s18, v4
	v_addc_co_u32_e32 v5, vcc, v12, v5, vcc
	global_load_dwordx2 v[4:5], v[4:5], off glc slc
	s_waitcnt vmcnt(1)
	v_subrev_u32_e32 v6, s8, v6
	s_waitcnt vmcnt(0)
	v_cmp_eq_f32_e32 vcc, 0, v4
	v_cmp_eq_f32_e64 s[2:3], 0, v5
	s_and_b64 s[2:3], vcc, s[2:3]
	v_cmp_eq_u32_e32 vcc, s6, v6
	s_and_b64 s[2:3], s[2:3], vcc
	s_and_b64 s[2:3], s[26:27], s[2:3]
	s_and_saveexec_b64 s[4:5], s[2:3]
	s_cbranch_execz .LBB8_14
; %bb.11:                               ;   in Loop: Header=BB8_10 Depth=1
	v_mbcnt_lo_u32_b32 v1, exec_lo, 0
	v_mbcnt_hi_u32_b32 v1, exec_hi, v1
	v_cmp_eq_u32_e64 s[2:3], 0, v1
	s_and_saveexec_b64 s[30:31], s[2:3]
	s_cbranch_execz .LBB8_13
; %bb.12:                               ;   in Loop: Header=BB8_10 Depth=1
	v_mov_b32_e32 v1, s38
	global_atomic_smin v13, v1, s[24:25]
.LBB8_13:                               ;   in Loop: Header=BB8_10 Depth=1
	s_or_b64 exec, exec, s[30:31]
	v_mov_b32_e32 v4, 1.0
	v_mov_b32_e32 v5, 0
.LBB8_14:                               ;   in Loop: Header=BB8_10 Depth=1
	s_or_b64 exec, exec, s[4:5]
	v_cmp_ne_u32_e64 s[2:3], s6, v6
	s_cmp_lt_i32 s9, 1
	s_mov_b64 s[30:31], 0
	s_cbranch_scc1 .LBB8_23
; %bb.15:                               ;   in Loop: Header=BB8_10 Depth=1
	s_cmp_eq_u32 s9, 1
	s_cbranch_scc0 .LBB8_24
; %bb.16:                               ;   in Loop: Header=BB8_10 Depth=1
	v_cmp_le_i32_e64 s[4:5], s6, v6
	s_mov_b64 s[34:35], 0
	s_and_saveexec_b64 s[36:37], s[4:5]
	s_cbranch_execz .LBB8_22
; %bb.17:                               ;   in Loop: Header=BB8_10 Depth=1
	s_mov_b64 s[34:35], -1
	s_and_saveexec_b64 s[4:5], vcc
	s_xor_b64 s[4:5], exec, s[4:5]
	s_cbranch_execz .LBB8_21
; %bb.18:                               ;   in Loop: Header=BB8_10 Depth=1
	s_and_b64 vcc, exec, s[0:1]
	s_cbranch_vccnz .LBB8_20
; %bb.19:                               ;   in Loop: Header=BB8_10 Depth=1
	v_mul_f32_e32 v1, v5, v5
	v_fmac_f32_e32 v1, v4, v4
	v_div_scale_f32 v7, s[34:35], v1, v1, 1.0
	v_rcp_f32_e32 v8, v7
	v_div_scale_f32 v9, vcc, 1.0, v1, 1.0
	v_fma_f32 v14, -v7, v8, 1.0
	v_fmac_f32_e32 v8, v14, v8
	v_mul_f32_e32 v14, v9, v8
	v_fma_f32 v15, -v7, v14, v9
	v_fmac_f32_e32 v14, v15, v8
	v_fma_f32 v7, -v7, v14, v9
	v_div_fmas_f32 v7, v7, v8, v14
	v_div_fixup_f32 v8, v7, v1, 1.0
	v_fma_f32 v14, 0, v5, v4
	v_fma_f32 v15, v4, 0, -v5
	v_pk_mul_f32 v[8:9], v[14:15], v[8:9] op_sel_hi:[1,0]
	v_mov_b32_e32 v1, s39
	ds_write_b64 v1, v[8:9]
.LBB8_20:                               ;   in Loop: Header=BB8_10 Depth=1
	s_xor_b64 s[34:35], exec, -1
.LBB8_21:                               ;   in Loop: Header=BB8_10 Depth=1
	s_or_b64 exec, exec, s[4:5]
	s_and_b64 s[34:35], s[34:35], exec
.LBB8_22:                               ;   in Loop: Header=BB8_10 Depth=1
	s_or_b64 exec, exec, s[36:37]
	s_mov_b32 s17, 4
	v_pk_mov_b32 v[8:9], v[2:3], v[2:3] op_sel:[0,1]
	s_branch .LBB8_25
.LBB8_23:                               ;   in Loop: Header=BB8_10 Depth=1
	s_mov_b64 s[34:35], 0
                                        ; implicit-def: $vgpr8_vgpr9
                                        ; implicit-def: $sgpr17
	s_cbranch_execnz .LBB8_26
	s_branch .LBB8_28
.LBB8_24:                               ;   in Loop: Header=BB8_10 Depth=1
	s_mov_b64 s[34:35], -1
                                        ; implicit-def: $vgpr8_vgpr9
                                        ; implicit-def: $sgpr17
.LBB8_25:                               ;   in Loop: Header=BB8_10 Depth=1
	s_branch .LBB8_28
.LBB8_26:                               ;   in Loop: Header=BB8_10 Depth=1
	s_cmp_eq_u32 s9, 0
	s_cbranch_scc1 .LBB8_30
; %bb.27:                               ;   in Loop: Header=BB8_10 Depth=1
	s_mov_b64 s[34:35], -1
                                        ; implicit-def: $vgpr8_vgpr9
                                        ; implicit-def: $sgpr17
.LBB8_28:                               ;   in Loop: Header=BB8_10 Depth=1
	v_mov_b32_e32 v1, s17
	s_and_saveexec_b64 s[2:3], s[34:35]
	s_cbranch_execnz .LBB8_33
.LBB8_29:                               ;   in Loop: Header=BB8_10 Depth=1
	s_or_b64 exec, exec, s[2:3]
	s_and_saveexec_b64 s[2:3], s[30:31]
	s_cbranch_execnz .LBB8_37
	s_branch .LBB8_40
.LBB8_30:                               ;   in Loop: Header=BB8_10 Depth=1
	v_cmp_ge_i32_e32 vcc, s6, v6
	s_mov_b64 s[34:35], 0
	s_and_saveexec_b64 s[4:5], vcc
; %bb.31:                               ;   in Loop: Header=BB8_10 Depth=1
	s_mov_b64 s[30:31], exec
	s_and_b64 s[34:35], s[2:3], exec
; %bb.32:                               ;   in Loop: Header=BB8_10 Depth=1
	s_or_b64 exec, exec, s[4:5]
	s_mov_b32 s17, 2
	v_pk_mov_b32 v[8:9], v[2:3], v[2:3] op_sel:[0,1]
	v_mov_b32_e32 v1, s17
	s_and_saveexec_b64 s[2:3], s[34:35]
	s_cbranch_execz .LBB8_29
.LBB8_33:                               ;   in Loop: Header=BB8_10 Depth=1
	v_ashrrev_i32_e32 v7, 31, v6
	v_lshlrev_b64 v[8:9], 2, v[6:7]
	v_mov_b32_e32 v1, s15
	v_add_co_u32_e32 v8, vcc, s14, v8
	v_addc_co_u32_e32 v9, vcc, v1, v9, vcc
	global_load_dword v1, v[8:9], off glc
	s_waitcnt vmcnt(0)
	v_cmp_eq_u32_e32 vcc, 0, v1
	s_and_saveexec_b64 s[4:5], vcc
	s_cbranch_execz .LBB8_36
; %bb.34:                               ;   in Loop: Header=BB8_10 Depth=1
	s_mov_b64 s[34:35], 0
.LBB8_35:                               ;   Parent Loop BB8_10 Depth=1
                                        ; =>  This Inner Loop Header: Depth=2
	global_load_dword v1, v[8:9], off glc
	s_waitcnt vmcnt(0)
	v_cmp_ne_u32_e32 vcc, 0, v1
	s_or_b64 s[34:35], vcc, s[34:35]
	s_andn2_b64 exec, exec, s[34:35]
	s_cbranch_execnz .LBB8_35
.LBB8_36:                               ;   in Loop: Header=BB8_10 Depth=1
	s_or_b64 exec, exec, s[4:5]
	v_lshlrev_b64 v[6:7], 3, v[6:7]
	v_mov_b32_e32 v1, s13
	v_add_co_u32_e32 v6, vcc, s12, v6
	v_addc_co_u32_e32 v7, vcc, v1, v7, vcc
	s_waitcnt lgkmcnt(0)
	buffer_wbinvl1_vol
	global_load_dwordx2 v[6:7], v[6:7], off
	v_mov_b32_e32 v1, 0
	s_andn2_b64 s[30:31], s[30:31], exec
	s_waitcnt vmcnt(0)
	v_pk_fma_f32 v[8:9], v[4:5], v[6:7], v[2:3] op_sel_hi:[1,0,1] neg_lo:[1,0,0] neg_hi:[1,0,0]
	v_pk_fma_f32 v[8:9], v[4:5], v[6:7], v[8:9] op_sel:[1,1,0] op_sel_hi:[0,1,1] neg_hi:[1,0,0]
	s_or_b64 exec, exec, s[2:3]
	s_and_saveexec_b64 s[2:3], s[30:31]
	s_cbranch_execz .LBB8_40
.LBB8_37:                               ;   in Loop: Header=BB8_10 Depth=1
	s_and_b64 vcc, exec, s[0:1]
	s_cbranch_vccnz .LBB8_39
; %bb.38:                               ;   in Loop: Header=BB8_10 Depth=1
	v_mul_f32_e32 v1, v5, v5
	v_fmac_f32_e32 v1, v4, v4
	v_div_scale_f32 v6, s[4:5], v1, v1, 1.0
	v_rcp_f32_e32 v7, v6
	v_div_scale_f32 v8, vcc, 1.0, v1, 1.0
	v_fma_f32 v9, -v6, v7, 1.0
	v_fmac_f32_e32 v7, v9, v7
	v_mul_f32_e32 v9, v8, v7
	v_fma_f32 v14, -v6, v9, v8
	v_fmac_f32_e32 v9, v14, v7
	v_fma_f32 v6, -v6, v9, v8
	v_div_fmas_f32 v6, v6, v7, v9
	v_div_fixup_f32 v6, v6, v1, 1.0
	v_fma_f32 v8, 0, v5, v4
	v_fma_f32 v9, v4, 0, -v5
	v_pk_mul_f32 v[4:5], v[8:9], v[6:7] op_sel_hi:[1,0]
	v_mov_b32_e32 v1, s39
	ds_write_b64 v1, v[4:5]
.LBB8_39:                               ;   in Loop: Header=BB8_10 Depth=1
	v_mov_b32_e32 v1, 2
	v_pk_mov_b32 v[8:9], v[2:3], v[2:3] op_sel:[0,1]
.LBB8_40:                               ;   in Loop: Header=BB8_10 Depth=1
	s_or_b64 exec, exec, s[2:3]
	v_cmp_gt_i32_e32 vcc, 4, v1
	s_mov_b64 s[2:3], -1
	s_mov_b64 s[4:5], -1
	s_and_saveexec_b64 s[30:31], vcc
; %bb.41:                               ;   in Loop: Header=BB8_10 Depth=1
	v_cmp_eq_u32_e32 vcc, 0, v1
	s_orn2_b64 s[4:5], vcc, exec
; %bb.42:                               ;   in Loop: Header=BB8_10 Depth=1
	s_or_b64 exec, exec, s[30:31]
	s_and_saveexec_b64 s[30:31], s[4:5]
	s_cbranch_execz .LBB8_9
; %bb.43:                               ;   in Loop: Header=BB8_10 Depth=1
	v_add_u32_e32 v0, 64, v0
	v_cmp_le_i32_e32 vcc, s33, v0
	s_orn2_b64 s[2:3], vcc, exec
	s_branch .LBB8_9
.LBB8_44:
	s_or_b64 exec, exec, s[28:29]
	v_pk_mov_b32 v[2:3], v[8:9], v[8:9] op_sel:[0,1]
.LBB8_45:
	s_or_b64 exec, exec, s[22:23]
	s_nop 0
	v_mov_b32_dpp v0, v2 row_shr:1 row_mask:0xf bank_mask:0xf
	v_mov_b32_dpp v1, v3 row_shr:1 row_mask:0xf bank_mask:0xf
	v_pk_add_f32 v[0:1], v[2:3], v[0:1]
	s_cmp_lg_u32 s10, 0
	s_nop 0
	v_mov_b32_dpp v2, v0 row_shr:2 row_mask:0xf bank_mask:0xf
	v_mov_b32_dpp v3, v1 row_shr:2 row_mask:0xf bank_mask:0xf
	v_pk_add_f32 v[0:1], v[0:1], v[2:3]
	s_nop 1
	v_mov_b32_dpp v2, v0 row_shr:4 row_mask:0xf bank_mask:0xe
	v_mov_b32_dpp v3, v1 row_shr:4 row_mask:0xf bank_mask:0xe
	v_pk_add_f32 v[0:1], v[0:1], v[2:3]
	;; [unrolled: 4-line block ×3, first 2 shown]
	s_nop 1
	v_mov_b32_dpp v2, v0 row_bcast:15 row_mask:0xa bank_mask:0xf
	v_mov_b32_dpp v3, v1 row_bcast:15 row_mask:0xa bank_mask:0xf
	v_pk_add_f32 v[0:1], v[0:1], v[2:3]
	s_nop 1
	v_mov_b32_dpp v2, v0 row_bcast:31 row_mask:0xc bank_mask:0xf
	v_mov_b32_dpp v3, v1 row_bcast:31 row_mask:0xc bank_mask:0xf
	v_pk_add_f32 v[0:1], v[0:1], v[2:3]
	s_cbranch_scc0 .LBB8_49
; %bb.46:
	v_cmp_eq_u32_e32 vcc, 63, v10
	s_and_saveexec_b64 s[0:1], vcc
	s_cbranch_execz .LBB8_48
.LBB8_47:
	s_lshl_b64 s[0:1], s[6:7], 3
	s_add_u32 s0, s12, s0
	s_addc_u32 s1, s13, s1
	v_mov_b32_e32 v2, 0
	s_add_u32 s2, s14, s20
	s_addc_u32 s3, s15, s21
	global_store_dwordx2 v2, v[0:1], s[0:1] glc slc
	v_mov_b32_e32 v0, 1
	s_waitcnt vmcnt(0)
	global_store_dword v2, v0, s[2:3]
.LBB8_48:
	s_endpgm
.LBB8_49:
	s_lshl_b32 s0, s11, 3
	v_mov_b32_e32 v2, s0
	s_waitcnt lgkmcnt(0)
	ds_read_b64 v[2:3], v2
	s_waitcnt lgkmcnt(0)
	v_pk_mul_f32 v[4:5], v[2:3], v[0:1] op_sel:[1,1] op_sel_hi:[1,0] neg_lo:[0,1]
	v_pk_fma_f32 v[0:1], v[0:1], v[2:3], v[4:5] op_sel_hi:[1,0,1]
	v_cmp_eq_u32_e32 vcc, 63, v10
	s_and_saveexec_b64 s[0:1], vcc
	s_cbranch_execnz .LBB8_47
	s_branch .LBB8_48
	.section	.rodata,"a",@progbits
	.p2align	6, 0x0
	.amdhsa_kernel _ZN9rocsparseL12csrsv_kernelILj1024ELj64ELb0Eii21rocsparse_complex_numIfEEEvT3_NS_24const_host_device_scalarIT4_EEPKT2_PKS3_PKS5_SD_lPS5_PiSB_iPS3_21rocsparse_index_base_20rocsparse_fill_mode_20rocsparse_diag_type_b
		.amdhsa_group_segment_fixed_size 128
		.amdhsa_private_segment_fixed_size 0
		.amdhsa_kernarg_size 112
		.amdhsa_user_sgpr_count 6
		.amdhsa_user_sgpr_private_segment_buffer 1
		.amdhsa_user_sgpr_dispatch_ptr 0
		.amdhsa_user_sgpr_queue_ptr 0
		.amdhsa_user_sgpr_kernarg_segment_ptr 1
		.amdhsa_user_sgpr_dispatch_id 0
		.amdhsa_user_sgpr_flat_scratch_init 0
		.amdhsa_user_sgpr_kernarg_preload_length 0
		.amdhsa_user_sgpr_kernarg_preload_offset 0
		.amdhsa_user_sgpr_private_segment_size 0
		.amdhsa_uses_dynamic_stack 0
		.amdhsa_system_sgpr_private_segment_wavefront_offset 0
		.amdhsa_system_sgpr_workgroup_id_x 1
		.amdhsa_system_sgpr_workgroup_id_y 0
		.amdhsa_system_sgpr_workgroup_id_z 0
		.amdhsa_system_sgpr_workgroup_info 0
		.amdhsa_system_vgpr_workitem_id 0
		.amdhsa_next_free_vgpr 16
		.amdhsa_next_free_sgpr 40
		.amdhsa_accum_offset 16
		.amdhsa_reserve_vcc 1
		.amdhsa_reserve_flat_scratch 0
		.amdhsa_float_round_mode_32 0
		.amdhsa_float_round_mode_16_64 0
		.amdhsa_float_denorm_mode_32 3
		.amdhsa_float_denorm_mode_16_64 3
		.amdhsa_dx10_clamp 1
		.amdhsa_ieee_mode 1
		.amdhsa_fp16_overflow 0
		.amdhsa_tg_split 0
		.amdhsa_exception_fp_ieee_invalid_op 0
		.amdhsa_exception_fp_denorm_src 0
		.amdhsa_exception_fp_ieee_div_zero 0
		.amdhsa_exception_fp_ieee_overflow 0
		.amdhsa_exception_fp_ieee_underflow 0
		.amdhsa_exception_fp_ieee_inexact 0
		.amdhsa_exception_int_div_zero 0
	.end_amdhsa_kernel
	.section	.text._ZN9rocsparseL12csrsv_kernelILj1024ELj64ELb0Eii21rocsparse_complex_numIfEEEvT3_NS_24const_host_device_scalarIT4_EEPKT2_PKS3_PKS5_SD_lPS5_PiSB_iPS3_21rocsparse_index_base_20rocsparse_fill_mode_20rocsparse_diag_type_b,"axG",@progbits,_ZN9rocsparseL12csrsv_kernelILj1024ELj64ELb0Eii21rocsparse_complex_numIfEEEvT3_NS_24const_host_device_scalarIT4_EEPKT2_PKS3_PKS5_SD_lPS5_PiSB_iPS3_21rocsparse_index_base_20rocsparse_fill_mode_20rocsparse_diag_type_b,comdat
.Lfunc_end8:
	.size	_ZN9rocsparseL12csrsv_kernelILj1024ELj64ELb0Eii21rocsparse_complex_numIfEEEvT3_NS_24const_host_device_scalarIT4_EEPKT2_PKS3_PKS5_SD_lPS5_PiSB_iPS3_21rocsparse_index_base_20rocsparse_fill_mode_20rocsparse_diag_type_b, .Lfunc_end8-_ZN9rocsparseL12csrsv_kernelILj1024ELj64ELb0Eii21rocsparse_complex_numIfEEEvT3_NS_24const_host_device_scalarIT4_EEPKT2_PKS3_PKS5_SD_lPS5_PiSB_iPS3_21rocsparse_index_base_20rocsparse_fill_mode_20rocsparse_diag_type_b
                                        ; -- End function
	.section	.AMDGPU.csdata,"",@progbits
; Kernel info:
; codeLenInByte = 1624
; NumSgprs: 44
; NumVgprs: 16
; NumAgprs: 0
; TotalNumVgprs: 16
; ScratchSize: 0
; MemoryBound: 0
; FloatMode: 240
; IeeeMode: 1
; LDSByteSize: 128 bytes/workgroup (compile time only)
; SGPRBlocks: 5
; VGPRBlocks: 1
; NumSGPRsForWavesPerEU: 44
; NumVGPRsForWavesPerEU: 16
; AccumOffset: 16
; Occupancy: 8
; WaveLimiterHint : 1
; COMPUTE_PGM_RSRC2:SCRATCH_EN: 0
; COMPUTE_PGM_RSRC2:USER_SGPR: 6
; COMPUTE_PGM_RSRC2:TRAP_HANDLER: 0
; COMPUTE_PGM_RSRC2:TGID_X_EN: 1
; COMPUTE_PGM_RSRC2:TGID_Y_EN: 0
; COMPUTE_PGM_RSRC2:TGID_Z_EN: 0
; COMPUTE_PGM_RSRC2:TIDIG_COMP_CNT: 0
; COMPUTE_PGM_RSRC3_GFX90A:ACCUM_OFFSET: 3
; COMPUTE_PGM_RSRC3_GFX90A:TG_SPLIT: 0
	.section	.text._ZN9rocsparseL12csrsv_kernelILj1024ELj64ELb1Eii21rocsparse_complex_numIdEEEvT3_NS_24const_host_device_scalarIT4_EEPKT2_PKS3_PKS5_SD_lPS5_PiSB_iPS3_21rocsparse_index_base_20rocsparse_fill_mode_20rocsparse_diag_type_b,"axG",@progbits,_ZN9rocsparseL12csrsv_kernelILj1024ELj64ELb1Eii21rocsparse_complex_numIdEEEvT3_NS_24const_host_device_scalarIT4_EEPKT2_PKS3_PKS5_SD_lPS5_PiSB_iPS3_21rocsparse_index_base_20rocsparse_fill_mode_20rocsparse_diag_type_b,comdat
	.globl	_ZN9rocsparseL12csrsv_kernelILj1024ELj64ELb1Eii21rocsparse_complex_numIdEEEvT3_NS_24const_host_device_scalarIT4_EEPKT2_PKS3_PKS5_SD_lPS5_PiSB_iPS3_21rocsparse_index_base_20rocsparse_fill_mode_20rocsparse_diag_type_b ; -- Begin function _ZN9rocsparseL12csrsv_kernelILj1024ELj64ELb1Eii21rocsparse_complex_numIdEEEvT3_NS_24const_host_device_scalarIT4_EEPKT2_PKS3_PKS5_SD_lPS5_PiSB_iPS3_21rocsparse_index_base_20rocsparse_fill_mode_20rocsparse_diag_type_b
	.p2align	8
	.type	_ZN9rocsparseL12csrsv_kernelILj1024ELj64ELb1Eii21rocsparse_complex_numIdEEEvT3_NS_24const_host_device_scalarIT4_EEPKT2_PKS3_PKS5_SD_lPS5_PiSB_iPS3_21rocsparse_index_base_20rocsparse_fill_mode_20rocsparse_diag_type_b,@function
_ZN9rocsparseL12csrsv_kernelILj1024ELj64ELb1Eii21rocsparse_complex_numIdEEEvT3_NS_24const_host_device_scalarIT4_EEPKT2_PKS3_PKS5_SD_lPS5_PiSB_iPS3_21rocsparse_index_base_20rocsparse_fill_mode_20rocsparse_diag_type_b: ; @_ZN9rocsparseL12csrsv_kernelILj1024ELj64ELb1Eii21rocsparse_complex_numIdEEEvT3_NS_24const_host_device_scalarIT4_EEPKT2_PKS3_PKS5_SD_lPS5_PiSB_iPS3_21rocsparse_index_base_20rocsparse_fill_mode_20rocsparse_diag_type_b
; %bb.0:
	s_load_dwordx4 s[12:15], s[6:7], 0x68
	s_load_dwordx2 s[10:11], s[4:5], 0x4
	s_load_dwordx4 s[0:3], s[6:7], 0x8
	v_and_b32_e32 v4, 0x3ff, v0
	v_bfe_u32 v2, v0, 10, 10
	s_waitcnt lgkmcnt(0)
	s_and_b32 s4, 1, s15
	s_lshr_b32 s5, s10, 16
	s_mul_i32 s5, s5, s11
	v_mul_lo_u32 v1, s5, v4
	v_mad_u32_u24 v1, v2, s11, v1
	v_bfe_u32 v0, v0, 20, 10
	s_cmp_eq_u32 s4, 1
	v_add_lshl_u32 v2, v1, v0, 3
	v_add_u32_e32 v3, 0x100, v2
	v_pk_mov_b32 v[0:1], s[0:1], s[0:1] op_sel:[0,1]
	s_cselect_b64 vcc, -1, 0
	ds_write_b64 v2, v[0:1] offset:256
	s_mov_b64 s[4:5], src_shared_base
	v_cndmask_b32_e32 v0, v0, v3, vcc
	s_and_b64 vcc, vcc, exec
	s_cselect_b32 s4, s5, s1
	v_mov_b32_e32 v1, s4
	flat_load_dwordx2 v[0:1], v[0:1]
	v_pk_mov_b32 v[2:3], s[2:3], s[2:3] op_sel:[0,1]
	s_cbranch_vccnz .LBB9_2
; %bb.1:
	v_pk_mov_b32 v[2:3], s[0:1], s[0:1] op_sel:[0,1]
	flat_load_dwordx2 v[2:3], v[2:3] offset:8
.LBB9_2:
	s_load_dword s1, s[6:7], 0x0
	v_lshrrev_b32_e32 v5, 6, v4
	v_readfirstlane_b32 s15, v5
	s_lshl_b32 s0, s8, 4
	s_add_i32 s0, s15, s0
	s_waitcnt lgkmcnt(0)
	s_cmp_ge_i32 s0, s1
	s_cbranch_scc1 .LBB9_48
; %bb.3:
	s_load_dword s1, s[6:7], 0x58
	s_load_dwordx2 s[2:3], s[6:7], 0x50
	v_and_b32_e32 v16, 63, v4
	v_pk_mov_b32 v[8:9], 0, 0
	v_cmp_eq_u32_e32 vcc, 0, v16
	s_waitcnt lgkmcnt(0)
	s_add_i32 s0, s0, s1
	s_ashr_i32 s1, s0, 31
	s_lshl_b64 s[0:1], s[0:1], 2
	s_add_u32 s0, s2, s0
	s_addc_u32 s1, s3, s1
	s_load_dword s20, s[0:1], 0x0
	s_load_dwordx2 s[2:3], s[6:7], 0x18
	s_load_dwordx4 s[8:11], s[6:7], 0x40
	v_pk_mov_b32 v[4:5], v[8:9], v[8:9] op_sel:[0,1]
	s_waitcnt lgkmcnt(0)
	s_ashr_i32 s21, s20, 31
	s_lshl_b64 s[22:23], s[20:21], 2
	s_add_u32 s0, s2, s22
	s_addc_u32 s1, s3, s23
	s_load_dwordx2 s[0:1], s[0:1], 0x0
	s_and_saveexec_b64 s[2:3], vcc
	s_cbranch_execz .LBB9_5
; %bb.4:
	s_load_dwordx4 s[16:19], s[6:7], 0x30
	s_waitcnt lgkmcnt(0)
	s_mul_i32 s5, s20, s19
	s_mul_hi_u32 s19, s20, s18
	s_mul_i32 s24, s21, s18
	s_add_i32 s5, s19, s5
	s_mul_i32 s4, s20, s18
	s_add_i32 s5, s5, s24
	s_lshl_b64 s[4:5], s[4:5], 4
	s_add_u32 s4, s16, s4
	s_addc_u32 s5, s17, s5
	s_load_dwordx4 s[16:19], s[4:5], 0x0
	s_waitcnt vmcnt(0) lgkmcnt(0)
	v_mul_f64 v[8:9], s[18:19], -v[2:3]
	v_mul_f64 v[4:5], v[0:1], s[18:19]
	v_fmac_f64_e32 v[8:9], s[16:17], v[0:1]
	v_fmac_f64_e32 v[4:5], s[16:17], v[2:3]
.LBB9_5:
	s_or_b64 exec, exec, s[2:3]
	s_waitcnt vmcnt(0)
	v_subrev_u32_e32 v0, s12, v16
	s_waitcnt lgkmcnt(0)
	s_sub_i32 s33, s1, s12
	v_add_u32_e32 v6, s0, v0
	v_cmp_gt_i32_e32 vcc, s33, v6
	s_and_saveexec_b64 s[24:25], vcc
	s_cbranch_execz .LBB9_45
; %bb.6:
	s_load_dwordx2 s[26:27], s[6:7], 0x60
	s_load_dwordx4 s[16:19], s[6:7], 0x20
	s_cmp_eq_u32 s14, 0
	s_cselect_b64 s[6:7], -1, 0
	v_cndmask_b32_e64 v0, 0, 1, s[6:7]
	s_add_i32 s38, s20, s12
	s_lshl_b32 s39, s15, 4
	s_mov_b64 s[28:29], 0
	s_waitcnt lgkmcnt(0)
	v_mov_b32_e32 v17, s17
	v_mov_b32_e32 v18, s19
	v_mov_b32_e32 v19, 0
	v_cmp_ne_u32_e64 s[0:1], 1, v0
	s_branch .LBB9_8
.LBB9_7:                                ;   in Loop: Header=BB9_8 Depth=1
	s_or_b64 exec, exec, s[30:31]
	s_and_b64 s[2:3], exec, s[2:3]
	s_or_b64 s[28:29], s[2:3], s[28:29]
	v_pk_mov_b32 v[4:5], v[12:13], v[12:13] op_sel:[0,1]
	v_pk_mov_b32 v[8:9], v[14:15], v[14:15] op_sel:[0,1]
	s_andn2_b64 exec, exec, s[28:29]
	s_cbranch_execz .LBB9_44
.LBB9_8:                                ; =>This Loop Header: Depth=1
                                        ;     Child Loop BB9_34 Depth 2
                                        ;       Child Loop BB9_35 Depth 3
	v_ashrrev_i32_e32 v7, 31, v6
	v_lshlrev_b64 v[0:1], 2, v[6:7]
	v_add_co_u32_e32 v0, vcc, s16, v0
	v_addc_co_u32_e32 v1, vcc, v17, v1, vcc
	global_load_dword v10, v[0:1], off glc slc
	v_lshlrev_b64 v[0:1], 4, v[6:7]
	v_add_co_u32_e32 v0, vcc, s18, v0
	v_addc_co_u32_e32 v1, vcc, v18, v1, vcc
	global_load_dwordx4 v[0:3], v[0:1], off glc slc
	s_waitcnt vmcnt(1)
	v_subrev_u32_e32 v10, s12, v10
	s_waitcnt vmcnt(0)
	v_cmp_eq_f64_e32 vcc, 0, v[0:1]
	v_cmp_eq_f64_e64 s[2:3], 0, v[2:3]
	s_and_b64 s[2:3], vcc, s[2:3]
	v_cmp_eq_u32_e32 vcc, s20, v10
	s_and_b64 s[2:3], s[2:3], vcc
	s_and_b64 s[2:3], s[6:7], s[2:3]
	s_and_saveexec_b64 s[4:5], s[2:3]
	s_cbranch_execz .LBB9_12
; %bb.9:                                ;   in Loop: Header=BB9_8 Depth=1
	v_mbcnt_lo_u32_b32 v0, exec_lo, 0
	v_mbcnt_hi_u32_b32 v0, exec_hi, v0
	v_cmp_eq_u32_e64 s[2:3], 0, v0
	s_and_saveexec_b64 s[30:31], s[2:3]
	s_cbranch_execz .LBB9_11
; %bb.10:                               ;   in Loop: Header=BB9_8 Depth=1
	v_mov_b32_e32 v0, s38
	global_atomic_smin v19, v0, s[26:27]
.LBB9_11:                               ;   in Loop: Header=BB9_8 Depth=1
	s_or_b64 exec, exec, s[30:31]
	v_mov_b32_e32 v0, 0
	v_mov_b32_e32 v1, 0x3ff00000
	v_pk_mov_b32 v[2:3], 0, 0
.LBB9_12:                               ;   in Loop: Header=BB9_8 Depth=1
	s_or_b64 exec, exec, s[4:5]
	v_cmp_ne_u32_e64 s[2:3], s20, v10
	s_cmp_lt_i32 s13, 1
	s_mov_b64 s[30:31], 0
	s_cbranch_scc1 .LBB9_21
; %bb.13:                               ;   in Loop: Header=BB9_8 Depth=1
	s_cmp_eq_u32 s13, 1
	s_cbranch_scc0 .LBB9_22
; %bb.14:                               ;   in Loop: Header=BB9_8 Depth=1
	v_cmp_le_i32_e64 s[4:5], s20, v10
	s_mov_b64 s[34:35], 0
	s_and_saveexec_b64 s[36:37], s[4:5]
	s_cbranch_execz .LBB9_20
; %bb.15:                               ;   in Loop: Header=BB9_8 Depth=1
	s_mov_b64 s[34:35], -1
	s_and_saveexec_b64 s[4:5], vcc
	s_xor_b64 s[4:5], exec, s[4:5]
	s_cbranch_execz .LBB9_19
; %bb.16:                               ;   in Loop: Header=BB9_8 Depth=1
	s_and_b64 vcc, exec, s[0:1]
	s_cbranch_vccnz .LBB9_18
; %bb.17:                               ;   in Loop: Header=BB9_8 Depth=1
	v_mul_f64 v[12:13], v[2:3], v[2:3]
	v_fmac_f64_e32 v[12:13], v[0:1], v[0:1]
	v_div_scale_f64 v[14:15], s[34:35], v[12:13], v[12:13], 1.0
	v_rcp_f64_e32 v[20:21], v[14:15]
	v_div_scale_f64 v[22:23], vcc, 1.0, v[12:13], 1.0
	v_mov_b32_e32 v7, s39
	v_fma_f64 v[24:25], -v[14:15], v[20:21], 1.0
	v_fmac_f64_e32 v[20:21], v[20:21], v[24:25]
	v_fma_f64 v[24:25], -v[14:15], v[20:21], 1.0
	v_fmac_f64_e32 v[20:21], v[20:21], v[24:25]
	v_mul_f64 v[24:25], v[22:23], v[20:21]
	v_fma_f64 v[14:15], -v[14:15], v[24:25], v[22:23]
	v_div_fmas_f64 v[14:15], v[14:15], v[20:21], v[24:25]
	v_div_fixup_f64 v[14:15], v[14:15], v[12:13], 1.0
	v_fma_f64 v[12:13], 0, v[2:3], v[0:1]
	v_fma_f64 v[20:21], v[0:1], 0, -v[2:3]
	v_mul_f64 v[12:13], v[12:13], v[14:15]
	v_mul_f64 v[14:15], v[20:21], v[14:15]
	ds_write_b128 v7, v[12:15]
.LBB9_18:                               ;   in Loop: Header=BB9_8 Depth=1
	s_xor_b64 s[34:35], exec, -1
.LBB9_19:                               ;   in Loop: Header=BB9_8 Depth=1
	s_or_b64 exec, exec, s[4:5]
	s_and_b64 s[34:35], s[34:35], exec
.LBB9_20:                               ;   in Loop: Header=BB9_8 Depth=1
	s_or_b64 exec, exec, s[36:37]
	s_mov_b32 s17, 4
	v_pk_mov_b32 v[12:13], v[4:5], v[4:5] op_sel:[0,1]
	v_pk_mov_b32 v[14:15], v[8:9], v[8:9] op_sel:[0,1]
	s_branch .LBB9_23
.LBB9_21:                               ;   in Loop: Header=BB9_8 Depth=1
	s_mov_b64 s[34:35], 0
                                        ; implicit-def: $sgpr17
                                        ; implicit-def: $vgpr12_vgpr13
                                        ; implicit-def: $vgpr14_vgpr15
	s_cbranch_execnz .LBB9_24
	s_branch .LBB9_26
.LBB9_22:                               ;   in Loop: Header=BB9_8 Depth=1
	s_mov_b64 s[34:35], -1
                                        ; implicit-def: $sgpr17
                                        ; implicit-def: $vgpr12_vgpr13
                                        ; implicit-def: $vgpr14_vgpr15
.LBB9_23:                               ;   in Loop: Header=BB9_8 Depth=1
	s_branch .LBB9_26
.LBB9_24:                               ;   in Loop: Header=BB9_8 Depth=1
	s_cmp_eq_u32 s13, 0
	s_cbranch_scc1 .LBB9_28
; %bb.25:                               ;   in Loop: Header=BB9_8 Depth=1
	s_mov_b64 s[34:35], -1
                                        ; implicit-def: $sgpr17
                                        ; implicit-def: $vgpr12_vgpr13
                                        ; implicit-def: $vgpr14_vgpr15
.LBB9_26:                               ;   in Loop: Header=BB9_8 Depth=1
	v_mov_b32_e32 v7, s17
	s_and_saveexec_b64 s[2:3], s[34:35]
	s_cbranch_execnz .LBB9_31
.LBB9_27:                               ;   in Loop: Header=BB9_8 Depth=1
	s_or_b64 exec, exec, s[2:3]
	s_and_saveexec_b64 s[2:3], s[30:31]
	s_cbranch_execnz .LBB9_37
	s_branch .LBB9_40
.LBB9_28:                               ;   in Loop: Header=BB9_8 Depth=1
	v_cmp_ge_i32_e32 vcc, s20, v10
	s_mov_b64 s[34:35], 0
	s_and_saveexec_b64 s[4:5], vcc
; %bb.29:                               ;   in Loop: Header=BB9_8 Depth=1
	s_mov_b64 s[30:31], exec
	s_and_b64 s[34:35], s[2:3], exec
; %bb.30:                               ;   in Loop: Header=BB9_8 Depth=1
	s_or_b64 exec, exec, s[4:5]
	s_mov_b32 s17, 2
	v_pk_mov_b32 v[12:13], v[4:5], v[4:5] op_sel:[0,1]
	v_pk_mov_b32 v[14:15], v[8:9], v[8:9] op_sel:[0,1]
	v_mov_b32_e32 v7, s17
	s_and_saveexec_b64 s[2:3], s[34:35]
	s_cbranch_execz .LBB9_27
.LBB9_31:                               ;   in Loop: Header=BB9_8 Depth=1
	v_ashrrev_i32_e32 v11, 31, v10
	v_lshlrev_b64 v[12:13], 2, v[10:11]
	v_mov_b32_e32 v7, s11
	v_add_co_u32_e32 v12, vcc, s10, v12
	v_addc_co_u32_e32 v13, vcc, v7, v13, vcc
	global_load_dword v7, v[12:13], off glc
	s_waitcnt vmcnt(0)
	v_cmp_eq_u32_e32 vcc, 0, v7
	s_and_saveexec_b64 s[4:5], vcc
	s_cbranch_execz .LBB9_36
; %bb.32:                               ;   in Loop: Header=BB9_8 Depth=1
	s_mov_b32 s17, 0
	s_mov_b64 s[34:35], 0
	s_branch .LBB9_34
.LBB9_33:                               ;   in Loop: Header=BB9_34 Depth=2
	global_load_dword v7, v[12:13], off glc
	s_cmpk_lt_u32 s17, 0xf43
	s_cselect_b64 s[36:37], -1, 0
	s_cmp_lg_u64 s[36:37], 0
	s_addc_u32 s17, s17, 0
	s_waitcnt vmcnt(0)
	v_cmp_ne_u32_e32 vcc, 0, v7
	s_or_b64 s[34:35], vcc, s[34:35]
	s_andn2_b64 exec, exec, s[34:35]
	s_cbranch_execz .LBB9_36
.LBB9_34:                               ;   Parent Loop BB9_8 Depth=1
                                        ; =>  This Loop Header: Depth=2
                                        ;       Child Loop BB9_35 Depth 3
	s_cmp_eq_u32 s17, 0
	s_mov_b32 s19, s17
	s_cbranch_scc1 .LBB9_33
.LBB9_35:                               ;   Parent Loop BB9_8 Depth=1
                                        ;     Parent Loop BB9_34 Depth=2
                                        ; =>    This Inner Loop Header: Depth=3
	s_add_i32 s19, s19, -1
	s_cmp_eq_u32 s19, 0
	s_sleep 1
	s_cbranch_scc0 .LBB9_35
	s_branch .LBB9_33
.LBB9_36:                               ;   in Loop: Header=BB9_8 Depth=1
	s_or_b64 exec, exec, s[4:5]
	v_lshlrev_b64 v[10:11], 4, v[10:11]
	v_mov_b32_e32 v7, s9
	v_add_co_u32_e32 v10, vcc, s8, v10
	v_addc_co_u32_e32 v11, vcc, v7, v11, vcc
	s_waitcnt lgkmcnt(0)
	buffer_wbinvl1_vol
	global_load_dwordx4 v[10:13], v[10:11], off
	v_mov_b32_e32 v7, 0
	s_andn2_b64 s[30:31], s[30:31], exec
	s_waitcnt vmcnt(0)
	v_fma_f64 v[14:15], -v[0:1], v[10:11], v[8:9]
	v_fma_f64 v[10:11], -v[2:3], v[10:11], v[4:5]
	v_fmac_f64_e32 v[14:15], v[2:3], v[12:13]
	v_fma_f64 v[12:13], -v[0:1], v[12:13], v[10:11]
	s_or_b64 exec, exec, s[2:3]
	s_and_saveexec_b64 s[2:3], s[30:31]
	s_cbranch_execz .LBB9_40
.LBB9_37:                               ;   in Loop: Header=BB9_8 Depth=1
	s_and_b64 vcc, exec, s[0:1]
	s_cbranch_vccnz .LBB9_39
; %bb.38:                               ;   in Loop: Header=BB9_8 Depth=1
	v_mul_f64 v[10:11], v[2:3], v[2:3]
	v_fmac_f64_e32 v[10:11], v[0:1], v[0:1]
	v_div_scale_f64 v[12:13], s[4:5], v[10:11], v[10:11], 1.0
	v_rcp_f64_e32 v[14:15], v[12:13]
	v_div_scale_f64 v[20:21], vcc, 1.0, v[10:11], 1.0
	v_fma_f64 v[22:23], -v[12:13], v[14:15], 1.0
	v_fmac_f64_e32 v[14:15], v[14:15], v[22:23]
	v_fma_f64 v[22:23], -v[12:13], v[14:15], 1.0
	v_fmac_f64_e32 v[14:15], v[14:15], v[22:23]
	v_mul_f64 v[22:23], v[20:21], v[14:15]
	v_fma_f64 v[12:13], -v[12:13], v[22:23], v[20:21]
	v_div_fmas_f64 v[12:13], v[12:13], v[14:15], v[22:23]
	v_div_fixup_f64 v[12:13], v[12:13], v[10:11], 1.0
	v_fma_f64 v[10:11], 0, v[2:3], v[0:1]
	v_fma_f64 v[0:1], v[0:1], 0, -v[2:3]
	v_mul_f64 v[10:11], v[10:11], v[12:13]
	v_mul_f64 v[12:13], v[0:1], v[12:13]
	v_mov_b32_e32 v0, s39
	ds_write_b128 v0, v[10:13]
.LBB9_39:                               ;   in Loop: Header=BB9_8 Depth=1
	v_mov_b32_e32 v7, 2
	v_pk_mov_b32 v[14:15], v[8:9], v[8:9] op_sel:[0,1]
	v_pk_mov_b32 v[12:13], v[4:5], v[4:5] op_sel:[0,1]
.LBB9_40:                               ;   in Loop: Header=BB9_8 Depth=1
	s_or_b64 exec, exec, s[2:3]
	v_cmp_gt_i32_e32 vcc, 4, v7
	s_mov_b64 s[2:3], -1
	s_mov_b64 s[4:5], -1
	s_and_saveexec_b64 s[30:31], vcc
; %bb.41:                               ;   in Loop: Header=BB9_8 Depth=1
	v_cmp_eq_u32_e32 vcc, 0, v7
	s_orn2_b64 s[4:5], vcc, exec
; %bb.42:                               ;   in Loop: Header=BB9_8 Depth=1
	s_or_b64 exec, exec, s[30:31]
	s_and_saveexec_b64 s[30:31], s[4:5]
	s_cbranch_execz .LBB9_7
; %bb.43:                               ;   in Loop: Header=BB9_8 Depth=1
	v_add_u32_e32 v6, 64, v6
	v_cmp_le_i32_e32 vcc, s33, v6
	s_orn2_b64 s[2:3], vcc, exec
	s_branch .LBB9_7
.LBB9_44:
	s_or_b64 exec, exec, s[28:29]
	v_pk_mov_b32 v[4:5], v[12:13], v[12:13] op_sel:[0,1]
	v_pk_mov_b32 v[8:9], v[14:15], v[14:15] op_sel:[0,1]
.LBB9_45:
	s_or_b64 exec, exec, s[24:25]
	s_nop 0
	v_mov_b32_dpp v0, v8 row_shr:1 row_mask:0xf bank_mask:0xf
	v_mov_b32_dpp v1, v9 row_shr:1 row_mask:0xf bank_mask:0xf
	v_add_f64 v[0:1], v[8:9], v[0:1]
	s_cmp_lg_u32 s14, 0
	s_nop 0
	v_mov_b32_dpp v2, v0 row_shr:2 row_mask:0xf bank_mask:0xf
	v_mov_b32_dpp v3, v1 row_shr:2 row_mask:0xf bank_mask:0xf
	v_add_f64 v[0:1], v[0:1], v[2:3]
	s_nop 1
	v_mov_b32_dpp v2, v0 row_shr:4 row_mask:0xf bank_mask:0xe
	v_mov_b32_dpp v3, v1 row_shr:4 row_mask:0xf bank_mask:0xe
	v_add_f64 v[0:1], v[0:1], v[2:3]
	;; [unrolled: 4-line block ×3, first 2 shown]
	s_nop 1
	v_mov_b32_dpp v2, v0 row_bcast:15 row_mask:0xa bank_mask:0xf
	v_mov_b32_dpp v3, v1 row_bcast:15 row_mask:0xa bank_mask:0xf
	v_add_f64 v[0:1], v[0:1], v[2:3]
	s_nop 1
	v_mov_b32_dpp v2, v0 row_bcast:31 row_mask:0xc bank_mask:0xf
	v_mov_b32_dpp v3, v1 row_bcast:31 row_mask:0xc bank_mask:0xf
	v_add_f64 v[0:1], v[0:1], v[2:3]
	v_mov_b32_dpp v2, v4 row_shr:1 row_mask:0xf bank_mask:0xf
	v_mov_b32_dpp v3, v5 row_shr:1 row_mask:0xf bank_mask:0xf
	v_add_f64 v[2:3], v[4:5], v[2:3]
	s_nop 1
	v_mov_b32_dpp v4, v2 row_shr:2 row_mask:0xf bank_mask:0xf
	v_mov_b32_dpp v5, v3 row_shr:2 row_mask:0xf bank_mask:0xf
	v_add_f64 v[2:3], v[2:3], v[4:5]
	s_nop 1
	;; [unrolled: 4-line block ×4, first 2 shown]
	v_mov_b32_dpp v4, v2 row_bcast:15 row_mask:0xa bank_mask:0xf
	v_mov_b32_dpp v5, v3 row_bcast:15 row_mask:0xa bank_mask:0xf
	v_add_f64 v[2:3], v[2:3], v[4:5]
	s_nop 1
	v_mov_b32_dpp v4, v2 row_bcast:31 row_mask:0xc bank_mask:0xf
	v_mov_b32_dpp v5, v3 row_bcast:31 row_mask:0xc bank_mask:0xf
	v_add_f64 v[2:3], v[2:3], v[4:5]
	s_cbranch_scc0 .LBB9_49
; %bb.46:
	v_cmp_eq_u32_e32 vcc, 63, v16
	s_and_saveexec_b64 s[0:1], vcc
	s_cbranch_execz .LBB9_48
.LBB9_47:
	s_lshl_b64 s[0:1], s[20:21], 4
	s_add_u32 s0, s8, s0
	s_addc_u32 s1, s9, s1
	v_mov_b32_e32 v4, 0
	s_add_u32 s2, s10, s22
	s_addc_u32 s3, s11, s23
	global_store_dwordx4 v4, v[0:3], s[0:1] glc slc
	s_nop 0
	v_mov_b32_e32 v0, 1
	s_waitcnt vmcnt(0)
	global_store_dword v4, v0, s[2:3]
.LBB9_48:
	s_endpgm
.LBB9_49:
	s_lshl_b32 s0, s15, 4
	v_mov_b32_e32 v4, s0
	s_waitcnt lgkmcnt(0)
	ds_read_b128 v[4:7], v4
	s_waitcnt lgkmcnt(0)
	v_mul_f64 v[8:9], v[6:7], -v[2:3]
	v_mul_f64 v[6:7], v[0:1], v[6:7]
	v_fmac_f64_e32 v[8:9], v[0:1], v[4:5]
	v_fmac_f64_e32 v[6:7], v[2:3], v[4:5]
	v_pk_mov_b32 v[0:1], v[8:9], v[8:9] op_sel:[0,1]
	v_pk_mov_b32 v[2:3], v[6:7], v[6:7] op_sel:[0,1]
	v_cmp_eq_u32_e32 vcc, 63, v16
	s_and_saveexec_b64 s[0:1], vcc
	s_cbranch_execnz .LBB9_47
	s_branch .LBB9_48
	.section	.rodata,"a",@progbits
	.p2align	6, 0x0
	.amdhsa_kernel _ZN9rocsparseL12csrsv_kernelILj1024ELj64ELb1Eii21rocsparse_complex_numIdEEEvT3_NS_24const_host_device_scalarIT4_EEPKT2_PKS3_PKS5_SD_lPS5_PiSB_iPS3_21rocsparse_index_base_20rocsparse_fill_mode_20rocsparse_diag_type_b
		.amdhsa_group_segment_fixed_size 8448
		.amdhsa_private_segment_fixed_size 0
		.amdhsa_kernarg_size 120
		.amdhsa_user_sgpr_count 8
		.amdhsa_user_sgpr_private_segment_buffer 1
		.amdhsa_user_sgpr_dispatch_ptr 1
		.amdhsa_user_sgpr_queue_ptr 0
		.amdhsa_user_sgpr_kernarg_segment_ptr 1
		.amdhsa_user_sgpr_dispatch_id 0
		.amdhsa_user_sgpr_flat_scratch_init 0
		.amdhsa_user_sgpr_kernarg_preload_length 0
		.amdhsa_user_sgpr_kernarg_preload_offset 0
		.amdhsa_user_sgpr_private_segment_size 0
		.amdhsa_uses_dynamic_stack 0
		.amdhsa_system_sgpr_private_segment_wavefront_offset 0
		.amdhsa_system_sgpr_workgroup_id_x 1
		.amdhsa_system_sgpr_workgroup_id_y 0
		.amdhsa_system_sgpr_workgroup_id_z 0
		.amdhsa_system_sgpr_workgroup_info 0
		.amdhsa_system_vgpr_workitem_id 2
		.amdhsa_next_free_vgpr 26
		.amdhsa_next_free_sgpr 40
		.amdhsa_accum_offset 28
		.amdhsa_reserve_vcc 1
		.amdhsa_reserve_flat_scratch 0
		.amdhsa_float_round_mode_32 0
		.amdhsa_float_round_mode_16_64 0
		.amdhsa_float_denorm_mode_32 3
		.amdhsa_float_denorm_mode_16_64 3
		.amdhsa_dx10_clamp 1
		.amdhsa_ieee_mode 1
		.amdhsa_fp16_overflow 0
		.amdhsa_tg_split 0
		.amdhsa_exception_fp_ieee_invalid_op 0
		.amdhsa_exception_fp_denorm_src 0
		.amdhsa_exception_fp_ieee_div_zero 0
		.amdhsa_exception_fp_ieee_overflow 0
		.amdhsa_exception_fp_ieee_underflow 0
		.amdhsa_exception_fp_ieee_inexact 0
		.amdhsa_exception_int_div_zero 0
	.end_amdhsa_kernel
	.section	.text._ZN9rocsparseL12csrsv_kernelILj1024ELj64ELb1Eii21rocsparse_complex_numIdEEEvT3_NS_24const_host_device_scalarIT4_EEPKT2_PKS3_PKS5_SD_lPS5_PiSB_iPS3_21rocsparse_index_base_20rocsparse_fill_mode_20rocsparse_diag_type_b,"axG",@progbits,_ZN9rocsparseL12csrsv_kernelILj1024ELj64ELb1Eii21rocsparse_complex_numIdEEEvT3_NS_24const_host_device_scalarIT4_EEPKT2_PKS3_PKS5_SD_lPS5_PiSB_iPS3_21rocsparse_index_base_20rocsparse_fill_mode_20rocsparse_diag_type_b,comdat
.Lfunc_end9:
	.size	_ZN9rocsparseL12csrsv_kernelILj1024ELj64ELb1Eii21rocsparse_complex_numIdEEEvT3_NS_24const_host_device_scalarIT4_EEPKT2_PKS3_PKS5_SD_lPS5_PiSB_iPS3_21rocsparse_index_base_20rocsparse_fill_mode_20rocsparse_diag_type_b, .Lfunc_end9-_ZN9rocsparseL12csrsv_kernelILj1024ELj64ELb1Eii21rocsparse_complex_numIdEEEvT3_NS_24const_host_device_scalarIT4_EEPKT2_PKS3_PKS5_SD_lPS5_PiSB_iPS3_21rocsparse_index_base_20rocsparse_fill_mode_20rocsparse_diag_type_b
                                        ; -- End function
	.section	.AMDGPU.csdata,"",@progbits
; Kernel info:
; codeLenInByte = 2056
; NumSgprs: 44
; NumVgprs: 26
; NumAgprs: 0
; TotalNumVgprs: 26
; ScratchSize: 0
; MemoryBound: 0
; FloatMode: 240
; IeeeMode: 1
; LDSByteSize: 8448 bytes/workgroup (compile time only)
; SGPRBlocks: 5
; VGPRBlocks: 3
; NumSGPRsForWavesPerEU: 44
; NumVGPRsForWavesPerEU: 26
; AccumOffset: 28
; Occupancy: 8
; WaveLimiterHint : 1
; COMPUTE_PGM_RSRC2:SCRATCH_EN: 0
; COMPUTE_PGM_RSRC2:USER_SGPR: 8
; COMPUTE_PGM_RSRC2:TRAP_HANDLER: 0
; COMPUTE_PGM_RSRC2:TGID_X_EN: 1
; COMPUTE_PGM_RSRC2:TGID_Y_EN: 0
; COMPUTE_PGM_RSRC2:TGID_Z_EN: 0
; COMPUTE_PGM_RSRC2:TIDIG_COMP_CNT: 2
; COMPUTE_PGM_RSRC3_GFX90A:ACCUM_OFFSET: 6
; COMPUTE_PGM_RSRC3_GFX90A:TG_SPLIT: 0
	.section	.text._ZN9rocsparseL12csrsv_kernelILj1024ELj32ELb0Eii21rocsparse_complex_numIdEEEvT3_NS_24const_host_device_scalarIT4_EEPKT2_PKS3_PKS5_SD_lPS5_PiSB_iPS3_21rocsparse_index_base_20rocsparse_fill_mode_20rocsparse_diag_type_b,"axG",@progbits,_ZN9rocsparseL12csrsv_kernelILj1024ELj32ELb0Eii21rocsparse_complex_numIdEEEvT3_NS_24const_host_device_scalarIT4_EEPKT2_PKS3_PKS5_SD_lPS5_PiSB_iPS3_21rocsparse_index_base_20rocsparse_fill_mode_20rocsparse_diag_type_b,comdat
	.globl	_ZN9rocsparseL12csrsv_kernelILj1024ELj32ELb0Eii21rocsparse_complex_numIdEEEvT3_NS_24const_host_device_scalarIT4_EEPKT2_PKS3_PKS5_SD_lPS5_PiSB_iPS3_21rocsparse_index_base_20rocsparse_fill_mode_20rocsparse_diag_type_b ; -- Begin function _ZN9rocsparseL12csrsv_kernelILj1024ELj32ELb0Eii21rocsparse_complex_numIdEEEvT3_NS_24const_host_device_scalarIT4_EEPKT2_PKS3_PKS5_SD_lPS5_PiSB_iPS3_21rocsparse_index_base_20rocsparse_fill_mode_20rocsparse_diag_type_b
	.p2align	8
	.type	_ZN9rocsparseL12csrsv_kernelILj1024ELj32ELb0Eii21rocsparse_complex_numIdEEEvT3_NS_24const_host_device_scalarIT4_EEPKT2_PKS3_PKS5_SD_lPS5_PiSB_iPS3_21rocsparse_index_base_20rocsparse_fill_mode_20rocsparse_diag_type_b,@function
_ZN9rocsparseL12csrsv_kernelILj1024ELj32ELb0Eii21rocsparse_complex_numIdEEEvT3_NS_24const_host_device_scalarIT4_EEPKT2_PKS3_PKS5_SD_lPS5_PiSB_iPS3_21rocsparse_index_base_20rocsparse_fill_mode_20rocsparse_diag_type_b: ; @_ZN9rocsparseL12csrsv_kernelILj1024ELj32ELb0Eii21rocsparse_complex_numIdEEEvT3_NS_24const_host_device_scalarIT4_EEPKT2_PKS3_PKS5_SD_lPS5_PiSB_iPS3_21rocsparse_index_base_20rocsparse_fill_mode_20rocsparse_diag_type_b
; %bb.0:
	s_load_dwordx4 s[12:15], s[6:7], 0x68
	s_load_dwordx2 s[10:11], s[4:5], 0x4
	s_load_dwordx4 s[0:3], s[6:7], 0x8
	v_and_b32_e32 v4, 0x3ff, v0
	v_bfe_u32 v2, v0, 10, 10
	s_waitcnt lgkmcnt(0)
	s_and_b32 s4, 1, s15
	s_lshr_b32 s5, s10, 16
	s_mul_i32 s5, s5, s11
	v_mul_lo_u32 v1, s5, v4
	v_mad_u32_u24 v1, v2, s11, v1
	v_bfe_u32 v0, v0, 20, 10
	s_cmp_eq_u32 s4, 1
	v_add_lshl_u32 v2, v1, v0, 3
	v_add_u32_e32 v3, 0x200, v2
	v_pk_mov_b32 v[0:1], s[0:1], s[0:1] op_sel:[0,1]
	s_cselect_b64 vcc, -1, 0
	ds_write_b64 v2, v[0:1] offset:512
	s_mov_b64 s[4:5], src_shared_base
	v_cndmask_b32_e32 v0, v0, v3, vcc
	s_and_b64 vcc, vcc, exec
	s_cselect_b32 s4, s5, s1
	v_mov_b32_e32 v1, s4
	flat_load_dwordx2 v[0:1], v[0:1]
	v_pk_mov_b32 v[2:3], s[2:3], s[2:3] op_sel:[0,1]
	s_cbranch_vccnz .LBB10_2
; %bb.1:
	v_pk_mov_b32 v[2:3], s[0:1], s[0:1] op_sel:[0,1]
	flat_load_dwordx2 v[2:3], v[2:3] offset:8
.LBB10_2:
	s_load_dword s1, s[6:7], 0x0
	v_lshrrev_b32_e32 v5, 5, v4
	v_readfirstlane_b32 s15, v5
	s_lshl_b32 s0, s8, 5
	s_add_i32 s0, s15, s0
	s_waitcnt lgkmcnt(0)
	s_cmp_ge_i32 s0, s1
	s_cbranch_scc1 .LBB10_46
; %bb.3:
	s_load_dword s1, s[6:7], 0x58
	s_load_dwordx2 s[2:3], s[6:7], 0x50
	v_and_b32_e32 v16, 31, v4
	v_pk_mov_b32 v[8:9], 0, 0
	v_cmp_eq_u32_e32 vcc, 0, v16
	s_waitcnt lgkmcnt(0)
	s_add_i32 s0, s0, s1
	s_ashr_i32 s1, s0, 31
	s_lshl_b64 s[0:1], s[0:1], 2
	s_add_u32 s0, s2, s0
	s_addc_u32 s1, s3, s1
	s_load_dword s20, s[0:1], 0x0
	s_load_dwordx2 s[2:3], s[6:7], 0x18
	s_load_dwordx4 s[8:11], s[6:7], 0x40
	v_pk_mov_b32 v[6:7], v[8:9], v[8:9] op_sel:[0,1]
	s_waitcnt lgkmcnt(0)
	s_ashr_i32 s21, s20, 31
	s_lshl_b64 s[22:23], s[20:21], 2
	s_add_u32 s0, s2, s22
	s_addc_u32 s1, s3, s23
	s_load_dwordx2 s[0:1], s[0:1], 0x0
	s_and_saveexec_b64 s[2:3], vcc
	s_cbranch_execz .LBB10_5
; %bb.4:
	s_load_dwordx4 s[16:19], s[6:7], 0x30
	s_waitcnt lgkmcnt(0)
	s_mul_i32 s5, s20, s19
	s_mul_hi_u32 s19, s20, s18
	s_mul_i32 s24, s21, s18
	s_add_i32 s5, s19, s5
	s_mul_i32 s4, s20, s18
	s_add_i32 s5, s5, s24
	s_lshl_b64 s[4:5], s[4:5], 4
	s_add_u32 s4, s16, s4
	s_addc_u32 s5, s17, s5
	s_load_dwordx4 s[16:19], s[4:5], 0x0
	s_waitcnt vmcnt(0) lgkmcnt(0)
	v_mul_f64 v[8:9], s[18:19], -v[2:3]
	v_mul_f64 v[6:7], v[0:1], s[18:19]
	v_fmac_f64_e32 v[8:9], s[16:17], v[0:1]
	v_fmac_f64_e32 v[6:7], s[16:17], v[2:3]
.LBB10_5:
	s_or_b64 exec, exec, s[2:3]
	s_waitcnt vmcnt(0)
	v_subrev_u32_e32 v0, s12, v16
	s_waitcnt lgkmcnt(0)
	s_sub_i32 s33, s1, s12
	v_add_u32_e32 v4, s0, v0
	v_cmp_gt_i32_e32 vcc, s33, v4
	s_and_saveexec_b64 s[24:25], vcc
	s_cbranch_execz .LBB10_43
; %bb.6:
	s_load_dwordx2 s[26:27], s[6:7], 0x60
	s_load_dwordx4 s[16:19], s[6:7], 0x20
	s_cmp_eq_u32 s14, 0
	s_cselect_b64 s[6:7], -1, 0
	v_cndmask_b32_e64 v0, 0, 1, s[6:7]
	s_add_i32 s38, s20, s12
	s_lshl_b32 s39, s15, 4
	s_mov_b64 s[28:29], 0
	s_waitcnt lgkmcnt(0)
	v_mov_b32_e32 v17, s17
	v_mov_b32_e32 v18, s19
	;; [unrolled: 1-line block ×3, first 2 shown]
	v_cmp_ne_u32_e64 s[0:1], 1, v0
	s_branch .LBB10_8
.LBB10_7:                               ;   in Loop: Header=BB10_8 Depth=1
	s_or_b64 exec, exec, s[30:31]
	s_and_b64 s[2:3], exec, s[2:3]
	s_or_b64 s[28:29], s[2:3], s[28:29]
	v_pk_mov_b32 v[6:7], v[12:13], v[12:13] op_sel:[0,1]
	v_pk_mov_b32 v[8:9], v[14:15], v[14:15] op_sel:[0,1]
	s_andn2_b64 exec, exec, s[28:29]
	s_cbranch_execz .LBB10_42
.LBB10_8:                               ; =>This Loop Header: Depth=1
                                        ;     Child Loop BB10_33 Depth 2
	v_ashrrev_i32_e32 v5, 31, v4
	v_lshlrev_b64 v[0:1], 2, v[4:5]
	v_add_co_u32_e32 v0, vcc, s16, v0
	v_addc_co_u32_e32 v1, vcc, v17, v1, vcc
	global_load_dword v10, v[0:1], off glc slc
	v_lshlrev_b64 v[0:1], 4, v[4:5]
	v_add_co_u32_e32 v0, vcc, s18, v0
	v_addc_co_u32_e32 v1, vcc, v18, v1, vcc
	global_load_dwordx4 v[0:3], v[0:1], off glc slc
	s_waitcnt vmcnt(1)
	v_subrev_u32_e32 v10, s12, v10
	s_waitcnt vmcnt(0)
	v_cmp_eq_f64_e32 vcc, 0, v[0:1]
	v_cmp_eq_f64_e64 s[2:3], 0, v[2:3]
	s_and_b64 s[2:3], vcc, s[2:3]
	v_cmp_eq_u32_e32 vcc, s20, v10
	s_and_b64 s[2:3], s[2:3], vcc
	s_and_b64 s[2:3], s[6:7], s[2:3]
	s_and_saveexec_b64 s[4:5], s[2:3]
	s_cbranch_execz .LBB10_12
; %bb.9:                                ;   in Loop: Header=BB10_8 Depth=1
	v_mbcnt_lo_u32_b32 v0, exec_lo, 0
	v_mbcnt_hi_u32_b32 v0, exec_hi, v0
	v_cmp_eq_u32_e64 s[2:3], 0, v0
	s_and_saveexec_b64 s[30:31], s[2:3]
	s_cbranch_execz .LBB10_11
; %bb.10:                               ;   in Loop: Header=BB10_8 Depth=1
	v_mov_b32_e32 v0, s38
	global_atomic_smin v19, v0, s[26:27]
.LBB10_11:                              ;   in Loop: Header=BB10_8 Depth=1
	s_or_b64 exec, exec, s[30:31]
	v_mov_b32_e32 v0, 0
	v_mov_b32_e32 v1, 0x3ff00000
	v_pk_mov_b32 v[2:3], 0, 0
.LBB10_12:                              ;   in Loop: Header=BB10_8 Depth=1
	s_or_b64 exec, exec, s[4:5]
	v_cmp_ne_u32_e64 s[2:3], s20, v10
	s_cmp_lt_i32 s13, 1
	s_mov_b64 s[30:31], 0
	s_cbranch_scc1 .LBB10_21
; %bb.13:                               ;   in Loop: Header=BB10_8 Depth=1
	s_cmp_eq_u32 s13, 1
	s_cbranch_scc0 .LBB10_22
; %bb.14:                               ;   in Loop: Header=BB10_8 Depth=1
	v_cmp_le_i32_e64 s[4:5], s20, v10
	s_mov_b64 s[34:35], 0
	s_and_saveexec_b64 s[36:37], s[4:5]
	s_cbranch_execz .LBB10_20
; %bb.15:                               ;   in Loop: Header=BB10_8 Depth=1
	s_mov_b64 s[34:35], -1
	s_and_saveexec_b64 s[4:5], vcc
	s_xor_b64 s[4:5], exec, s[4:5]
	s_cbranch_execz .LBB10_19
; %bb.16:                               ;   in Loop: Header=BB10_8 Depth=1
	s_and_b64 vcc, exec, s[0:1]
	s_cbranch_vccnz .LBB10_18
; %bb.17:                               ;   in Loop: Header=BB10_8 Depth=1
	v_mul_f64 v[12:13], v[2:3], v[2:3]
	v_fmac_f64_e32 v[12:13], v[0:1], v[0:1]
	v_div_scale_f64 v[14:15], s[34:35], v[12:13], v[12:13], 1.0
	v_rcp_f64_e32 v[20:21], v[14:15]
	v_div_scale_f64 v[22:23], vcc, 1.0, v[12:13], 1.0
	v_mov_b32_e32 v5, s39
	v_fma_f64 v[24:25], -v[14:15], v[20:21], 1.0
	v_fmac_f64_e32 v[20:21], v[20:21], v[24:25]
	v_fma_f64 v[24:25], -v[14:15], v[20:21], 1.0
	v_fmac_f64_e32 v[20:21], v[20:21], v[24:25]
	v_mul_f64 v[24:25], v[22:23], v[20:21]
	v_fma_f64 v[14:15], -v[14:15], v[24:25], v[22:23]
	v_div_fmas_f64 v[14:15], v[14:15], v[20:21], v[24:25]
	v_div_fixup_f64 v[14:15], v[14:15], v[12:13], 1.0
	v_fma_f64 v[12:13], 0, v[2:3], v[0:1]
	v_fma_f64 v[20:21], v[0:1], 0, -v[2:3]
	v_mul_f64 v[12:13], v[12:13], v[14:15]
	v_mul_f64 v[14:15], v[20:21], v[14:15]
	ds_write_b128 v5, v[12:15]
.LBB10_18:                              ;   in Loop: Header=BB10_8 Depth=1
	s_xor_b64 s[34:35], exec, -1
.LBB10_19:                              ;   in Loop: Header=BB10_8 Depth=1
	s_or_b64 exec, exec, s[4:5]
	s_and_b64 s[34:35], s[34:35], exec
.LBB10_20:                              ;   in Loop: Header=BB10_8 Depth=1
	s_or_b64 exec, exec, s[36:37]
	s_mov_b32 s17, 4
	v_pk_mov_b32 v[12:13], v[6:7], v[6:7] op_sel:[0,1]
	v_pk_mov_b32 v[14:15], v[8:9], v[8:9] op_sel:[0,1]
	s_branch .LBB10_23
.LBB10_21:                              ;   in Loop: Header=BB10_8 Depth=1
	s_mov_b64 s[34:35], 0
                                        ; implicit-def: $sgpr17
                                        ; implicit-def: $vgpr12_vgpr13
                                        ; implicit-def: $vgpr14_vgpr15
	s_cbranch_execnz .LBB10_24
	s_branch .LBB10_26
.LBB10_22:                              ;   in Loop: Header=BB10_8 Depth=1
	s_mov_b64 s[34:35], -1
                                        ; implicit-def: $sgpr17
                                        ; implicit-def: $vgpr12_vgpr13
                                        ; implicit-def: $vgpr14_vgpr15
.LBB10_23:                              ;   in Loop: Header=BB10_8 Depth=1
	s_branch .LBB10_26
.LBB10_24:                              ;   in Loop: Header=BB10_8 Depth=1
	s_cmp_eq_u32 s13, 0
	s_cbranch_scc1 .LBB10_28
; %bb.25:                               ;   in Loop: Header=BB10_8 Depth=1
	s_mov_b64 s[34:35], -1
                                        ; implicit-def: $sgpr17
                                        ; implicit-def: $vgpr12_vgpr13
                                        ; implicit-def: $vgpr14_vgpr15
.LBB10_26:                              ;   in Loop: Header=BB10_8 Depth=1
	v_mov_b32_e32 v5, s17
	s_and_saveexec_b64 s[2:3], s[34:35]
	s_cbranch_execnz .LBB10_31
.LBB10_27:                              ;   in Loop: Header=BB10_8 Depth=1
	s_or_b64 exec, exec, s[2:3]
	s_and_saveexec_b64 s[2:3], s[30:31]
	s_cbranch_execnz .LBB10_35
	s_branch .LBB10_38
.LBB10_28:                              ;   in Loop: Header=BB10_8 Depth=1
	v_cmp_ge_i32_e32 vcc, s20, v10
	s_mov_b64 s[34:35], 0
	s_and_saveexec_b64 s[4:5], vcc
; %bb.29:                               ;   in Loop: Header=BB10_8 Depth=1
	s_mov_b64 s[30:31], exec
	s_and_b64 s[34:35], s[2:3], exec
; %bb.30:                               ;   in Loop: Header=BB10_8 Depth=1
	s_or_b64 exec, exec, s[4:5]
	s_mov_b32 s17, 2
	v_pk_mov_b32 v[12:13], v[6:7], v[6:7] op_sel:[0,1]
	v_pk_mov_b32 v[14:15], v[8:9], v[8:9] op_sel:[0,1]
	v_mov_b32_e32 v5, s17
	s_and_saveexec_b64 s[2:3], s[34:35]
	s_cbranch_execz .LBB10_27
.LBB10_31:                              ;   in Loop: Header=BB10_8 Depth=1
	v_ashrrev_i32_e32 v11, 31, v10
	v_lshlrev_b64 v[12:13], 2, v[10:11]
	v_mov_b32_e32 v5, s11
	v_add_co_u32_e32 v12, vcc, s10, v12
	v_addc_co_u32_e32 v13, vcc, v5, v13, vcc
	global_load_dword v5, v[12:13], off glc
	s_waitcnt vmcnt(0)
	v_cmp_eq_u32_e32 vcc, 0, v5
	s_and_saveexec_b64 s[4:5], vcc
	s_cbranch_execz .LBB10_34
; %bb.32:                               ;   in Loop: Header=BB10_8 Depth=1
	s_mov_b64 s[34:35], 0
.LBB10_33:                              ;   Parent Loop BB10_8 Depth=1
                                        ; =>  This Inner Loop Header: Depth=2
	global_load_dword v5, v[12:13], off glc
	s_waitcnt vmcnt(0)
	v_cmp_ne_u32_e32 vcc, 0, v5
	s_or_b64 s[34:35], vcc, s[34:35]
	s_andn2_b64 exec, exec, s[34:35]
	s_cbranch_execnz .LBB10_33
.LBB10_34:                              ;   in Loop: Header=BB10_8 Depth=1
	s_or_b64 exec, exec, s[4:5]
	v_lshlrev_b64 v[10:11], 4, v[10:11]
	v_mov_b32_e32 v5, s9
	v_add_co_u32_e32 v10, vcc, s8, v10
	v_addc_co_u32_e32 v11, vcc, v5, v11, vcc
	s_waitcnt lgkmcnt(0)
	buffer_wbinvl1_vol
	global_load_dwordx4 v[10:13], v[10:11], off
	v_mov_b32_e32 v5, 0
	s_andn2_b64 s[30:31], s[30:31], exec
	s_waitcnt vmcnt(0)
	v_fma_f64 v[14:15], -v[0:1], v[10:11], v[8:9]
	v_fma_f64 v[10:11], -v[2:3], v[10:11], v[6:7]
	v_fmac_f64_e32 v[14:15], v[2:3], v[12:13]
	v_fma_f64 v[12:13], -v[0:1], v[12:13], v[10:11]
	s_or_b64 exec, exec, s[2:3]
	s_and_saveexec_b64 s[2:3], s[30:31]
	s_cbranch_execz .LBB10_38
.LBB10_35:                              ;   in Loop: Header=BB10_8 Depth=1
	s_and_b64 vcc, exec, s[0:1]
	s_cbranch_vccnz .LBB10_37
; %bb.36:                               ;   in Loop: Header=BB10_8 Depth=1
	v_mul_f64 v[10:11], v[2:3], v[2:3]
	v_fmac_f64_e32 v[10:11], v[0:1], v[0:1]
	v_div_scale_f64 v[12:13], s[4:5], v[10:11], v[10:11], 1.0
	v_rcp_f64_e32 v[14:15], v[12:13]
	v_div_scale_f64 v[20:21], vcc, 1.0, v[10:11], 1.0
	v_fma_f64 v[22:23], -v[12:13], v[14:15], 1.0
	v_fmac_f64_e32 v[14:15], v[14:15], v[22:23]
	v_fma_f64 v[22:23], -v[12:13], v[14:15], 1.0
	v_fmac_f64_e32 v[14:15], v[14:15], v[22:23]
	v_mul_f64 v[22:23], v[20:21], v[14:15]
	v_fma_f64 v[12:13], -v[12:13], v[22:23], v[20:21]
	v_div_fmas_f64 v[12:13], v[12:13], v[14:15], v[22:23]
	v_div_fixup_f64 v[12:13], v[12:13], v[10:11], 1.0
	v_fma_f64 v[10:11], 0, v[2:3], v[0:1]
	v_fma_f64 v[0:1], v[0:1], 0, -v[2:3]
	v_mul_f64 v[10:11], v[10:11], v[12:13]
	v_mul_f64 v[12:13], v[0:1], v[12:13]
	v_mov_b32_e32 v0, s39
	ds_write_b128 v0, v[10:13]
.LBB10_37:                              ;   in Loop: Header=BB10_8 Depth=1
	v_mov_b32_e32 v5, 2
	v_pk_mov_b32 v[14:15], v[8:9], v[8:9] op_sel:[0,1]
	v_pk_mov_b32 v[12:13], v[6:7], v[6:7] op_sel:[0,1]
.LBB10_38:                              ;   in Loop: Header=BB10_8 Depth=1
	s_or_b64 exec, exec, s[2:3]
	v_cmp_gt_i32_e32 vcc, 4, v5
	s_mov_b64 s[2:3], -1
	s_mov_b64 s[4:5], -1
	s_and_saveexec_b64 s[30:31], vcc
; %bb.39:                               ;   in Loop: Header=BB10_8 Depth=1
	v_cmp_eq_u32_e32 vcc, 0, v5
	s_orn2_b64 s[4:5], vcc, exec
; %bb.40:                               ;   in Loop: Header=BB10_8 Depth=1
	s_or_b64 exec, exec, s[30:31]
	s_and_saveexec_b64 s[30:31], s[4:5]
	s_cbranch_execz .LBB10_7
; %bb.41:                               ;   in Loop: Header=BB10_8 Depth=1
	v_add_u32_e32 v4, 32, v4
	v_cmp_le_i32_e32 vcc, s33, v4
	s_orn2_b64 s[2:3], vcc, exec
	s_branch .LBB10_7
.LBB10_42:
	s_or_b64 exec, exec, s[28:29]
	v_pk_mov_b32 v[6:7], v[12:13], v[12:13] op_sel:[0,1]
	v_pk_mov_b32 v[8:9], v[14:15], v[14:15] op_sel:[0,1]
.LBB10_43:
	s_or_b64 exec, exec, s[24:25]
	s_nop 0
	v_mov_b32_dpp v0, v8 row_shr:1 row_mask:0xf bank_mask:0xf
	v_mov_b32_dpp v1, v9 row_shr:1 row_mask:0xf bank_mask:0xf
	v_add_f64 v[0:1], v[8:9], v[0:1]
	s_cmp_lg_u32 s14, 0
	s_nop 0
	v_mov_b32_dpp v2, v0 row_shr:2 row_mask:0xf bank_mask:0xf
	v_mov_b32_dpp v3, v1 row_shr:2 row_mask:0xf bank_mask:0xf
	v_add_f64 v[0:1], v[0:1], v[2:3]
	s_nop 1
	v_mov_b32_dpp v2, v0 row_shr:4 row_mask:0xf bank_mask:0xe
	v_mov_b32_dpp v3, v1 row_shr:4 row_mask:0xf bank_mask:0xe
	v_add_f64 v[0:1], v[0:1], v[2:3]
	;; [unrolled: 4-line block ×3, first 2 shown]
	s_nop 1
	v_mov_b32_dpp v2, v0 row_bcast:15 row_mask:0xa bank_mask:0xf
	v_mov_b32_dpp v3, v1 row_bcast:15 row_mask:0xa bank_mask:0xf
	v_add_f64 v[0:1], v[0:1], v[2:3]
	v_mov_b32_dpp v2, v6 row_shr:1 row_mask:0xf bank_mask:0xf
	v_mov_b32_dpp v3, v7 row_shr:1 row_mask:0xf bank_mask:0xf
	v_add_f64 v[2:3], v[6:7], v[2:3]
	s_nop 1
	v_mov_b32_dpp v4, v2 row_shr:2 row_mask:0xf bank_mask:0xf
	v_mov_b32_dpp v5, v3 row_shr:2 row_mask:0xf bank_mask:0xf
	v_add_f64 v[2:3], v[2:3], v[4:5]
	s_nop 1
	;; [unrolled: 4-line block ×4, first 2 shown]
	v_mov_b32_dpp v4, v2 row_bcast:15 row_mask:0xa bank_mask:0xf
	v_mov_b32_dpp v5, v3 row_bcast:15 row_mask:0xa bank_mask:0xf
	v_add_f64 v[2:3], v[2:3], v[4:5]
	s_cbranch_scc0 .LBB10_47
; %bb.44:
	v_cmp_eq_u32_e32 vcc, 31, v16
	s_and_saveexec_b64 s[0:1], vcc
	s_cbranch_execz .LBB10_46
.LBB10_45:
	s_lshl_b64 s[0:1], s[20:21], 4
	s_add_u32 s0, s8, s0
	s_addc_u32 s1, s9, s1
	v_mov_b32_e32 v4, 0
	s_add_u32 s2, s10, s22
	s_addc_u32 s3, s11, s23
	global_store_dwordx4 v4, v[0:3], s[0:1] glc slc
	s_nop 0
	v_mov_b32_e32 v0, 1
	s_waitcnt vmcnt(0)
	global_store_dword v4, v0, s[2:3]
.LBB10_46:
	s_endpgm
.LBB10_47:
	s_lshl_b32 s0, s15, 4
	v_mov_b32_e32 v4, s0
	s_waitcnt lgkmcnt(0)
	ds_read_b128 v[4:7], v4
	s_waitcnt lgkmcnt(0)
	v_mul_f64 v[8:9], v[6:7], -v[2:3]
	v_mul_f64 v[6:7], v[0:1], v[6:7]
	v_fmac_f64_e32 v[8:9], v[0:1], v[4:5]
	v_fmac_f64_e32 v[6:7], v[2:3], v[4:5]
	v_pk_mov_b32 v[0:1], v[8:9], v[8:9] op_sel:[0,1]
	v_pk_mov_b32 v[2:3], v[6:7], v[6:7] op_sel:[0,1]
	v_cmp_eq_u32_e32 vcc, 31, v16
	s_and_saveexec_b64 s[0:1], vcc
	s_cbranch_execnz .LBB10_45
	s_branch .LBB10_46
	.section	.rodata,"a",@progbits
	.p2align	6, 0x0
	.amdhsa_kernel _ZN9rocsparseL12csrsv_kernelILj1024ELj32ELb0Eii21rocsparse_complex_numIdEEEvT3_NS_24const_host_device_scalarIT4_EEPKT2_PKS3_PKS5_SD_lPS5_PiSB_iPS3_21rocsparse_index_base_20rocsparse_fill_mode_20rocsparse_diag_type_b
		.amdhsa_group_segment_fixed_size 8704
		.amdhsa_private_segment_fixed_size 0
		.amdhsa_kernarg_size 120
		.amdhsa_user_sgpr_count 8
		.amdhsa_user_sgpr_private_segment_buffer 1
		.amdhsa_user_sgpr_dispatch_ptr 1
		.amdhsa_user_sgpr_queue_ptr 0
		.amdhsa_user_sgpr_kernarg_segment_ptr 1
		.amdhsa_user_sgpr_dispatch_id 0
		.amdhsa_user_sgpr_flat_scratch_init 0
		.amdhsa_user_sgpr_kernarg_preload_length 0
		.amdhsa_user_sgpr_kernarg_preload_offset 0
		.amdhsa_user_sgpr_private_segment_size 0
		.amdhsa_uses_dynamic_stack 0
		.amdhsa_system_sgpr_private_segment_wavefront_offset 0
		.amdhsa_system_sgpr_workgroup_id_x 1
		.amdhsa_system_sgpr_workgroup_id_y 0
		.amdhsa_system_sgpr_workgroup_id_z 0
		.amdhsa_system_sgpr_workgroup_info 0
		.amdhsa_system_vgpr_workitem_id 2
		.amdhsa_next_free_vgpr 26
		.amdhsa_next_free_sgpr 40
		.amdhsa_accum_offset 28
		.amdhsa_reserve_vcc 1
		.amdhsa_reserve_flat_scratch 0
		.amdhsa_float_round_mode_32 0
		.amdhsa_float_round_mode_16_64 0
		.amdhsa_float_denorm_mode_32 3
		.amdhsa_float_denorm_mode_16_64 3
		.amdhsa_dx10_clamp 1
		.amdhsa_ieee_mode 1
		.amdhsa_fp16_overflow 0
		.amdhsa_tg_split 0
		.amdhsa_exception_fp_ieee_invalid_op 0
		.amdhsa_exception_fp_denorm_src 0
		.amdhsa_exception_fp_ieee_div_zero 0
		.amdhsa_exception_fp_ieee_overflow 0
		.amdhsa_exception_fp_ieee_underflow 0
		.amdhsa_exception_fp_ieee_inexact 0
		.amdhsa_exception_int_div_zero 0
	.end_amdhsa_kernel
	.section	.text._ZN9rocsparseL12csrsv_kernelILj1024ELj32ELb0Eii21rocsparse_complex_numIdEEEvT3_NS_24const_host_device_scalarIT4_EEPKT2_PKS3_PKS5_SD_lPS5_PiSB_iPS3_21rocsparse_index_base_20rocsparse_fill_mode_20rocsparse_diag_type_b,"axG",@progbits,_ZN9rocsparseL12csrsv_kernelILj1024ELj32ELb0Eii21rocsparse_complex_numIdEEEvT3_NS_24const_host_device_scalarIT4_EEPKT2_PKS3_PKS5_SD_lPS5_PiSB_iPS3_21rocsparse_index_base_20rocsparse_fill_mode_20rocsparse_diag_type_b,comdat
.Lfunc_end10:
	.size	_ZN9rocsparseL12csrsv_kernelILj1024ELj32ELb0Eii21rocsparse_complex_numIdEEEvT3_NS_24const_host_device_scalarIT4_EEPKT2_PKS3_PKS5_SD_lPS5_PiSB_iPS3_21rocsparse_index_base_20rocsparse_fill_mode_20rocsparse_diag_type_b, .Lfunc_end10-_ZN9rocsparseL12csrsv_kernelILj1024ELj32ELb0Eii21rocsparse_complex_numIdEEEvT3_NS_24const_host_device_scalarIT4_EEPKT2_PKS3_PKS5_SD_lPS5_PiSB_iPS3_21rocsparse_index_base_20rocsparse_fill_mode_20rocsparse_diag_type_b
                                        ; -- End function
	.section	.AMDGPU.csdata,"",@progbits
; Kernel info:
; codeLenInByte = 1944
; NumSgprs: 44
; NumVgprs: 26
; NumAgprs: 0
; TotalNumVgprs: 26
; ScratchSize: 0
; MemoryBound: 0
; FloatMode: 240
; IeeeMode: 1
; LDSByteSize: 8704 bytes/workgroup (compile time only)
; SGPRBlocks: 5
; VGPRBlocks: 3
; NumSGPRsForWavesPerEU: 44
; NumVGPRsForWavesPerEU: 26
; AccumOffset: 28
; Occupancy: 8
; WaveLimiterHint : 1
; COMPUTE_PGM_RSRC2:SCRATCH_EN: 0
; COMPUTE_PGM_RSRC2:USER_SGPR: 8
; COMPUTE_PGM_RSRC2:TRAP_HANDLER: 0
; COMPUTE_PGM_RSRC2:TGID_X_EN: 1
; COMPUTE_PGM_RSRC2:TGID_Y_EN: 0
; COMPUTE_PGM_RSRC2:TGID_Z_EN: 0
; COMPUTE_PGM_RSRC2:TIDIG_COMP_CNT: 2
; COMPUTE_PGM_RSRC3_GFX90A:ACCUM_OFFSET: 6
; COMPUTE_PGM_RSRC3_GFX90A:TG_SPLIT: 0
	.section	.text._ZN9rocsparseL12csrsv_kernelILj1024ELj64ELb0Eii21rocsparse_complex_numIdEEEvT3_NS_24const_host_device_scalarIT4_EEPKT2_PKS3_PKS5_SD_lPS5_PiSB_iPS3_21rocsparse_index_base_20rocsparse_fill_mode_20rocsparse_diag_type_b,"axG",@progbits,_ZN9rocsparseL12csrsv_kernelILj1024ELj64ELb0Eii21rocsparse_complex_numIdEEEvT3_NS_24const_host_device_scalarIT4_EEPKT2_PKS3_PKS5_SD_lPS5_PiSB_iPS3_21rocsparse_index_base_20rocsparse_fill_mode_20rocsparse_diag_type_b,comdat
	.globl	_ZN9rocsparseL12csrsv_kernelILj1024ELj64ELb0Eii21rocsparse_complex_numIdEEEvT3_NS_24const_host_device_scalarIT4_EEPKT2_PKS3_PKS5_SD_lPS5_PiSB_iPS3_21rocsparse_index_base_20rocsparse_fill_mode_20rocsparse_diag_type_b ; -- Begin function _ZN9rocsparseL12csrsv_kernelILj1024ELj64ELb0Eii21rocsparse_complex_numIdEEEvT3_NS_24const_host_device_scalarIT4_EEPKT2_PKS3_PKS5_SD_lPS5_PiSB_iPS3_21rocsparse_index_base_20rocsparse_fill_mode_20rocsparse_diag_type_b
	.p2align	8
	.type	_ZN9rocsparseL12csrsv_kernelILj1024ELj64ELb0Eii21rocsparse_complex_numIdEEEvT3_NS_24const_host_device_scalarIT4_EEPKT2_PKS3_PKS5_SD_lPS5_PiSB_iPS3_21rocsparse_index_base_20rocsparse_fill_mode_20rocsparse_diag_type_b,@function
_ZN9rocsparseL12csrsv_kernelILj1024ELj64ELb0Eii21rocsparse_complex_numIdEEEvT3_NS_24const_host_device_scalarIT4_EEPKT2_PKS3_PKS5_SD_lPS5_PiSB_iPS3_21rocsparse_index_base_20rocsparse_fill_mode_20rocsparse_diag_type_b: ; @_ZN9rocsparseL12csrsv_kernelILj1024ELj64ELb0Eii21rocsparse_complex_numIdEEEvT3_NS_24const_host_device_scalarIT4_EEPKT2_PKS3_PKS5_SD_lPS5_PiSB_iPS3_21rocsparse_index_base_20rocsparse_fill_mode_20rocsparse_diag_type_b
; %bb.0:
	s_load_dwordx4 s[12:15], s[6:7], 0x68
	s_load_dwordx2 s[10:11], s[4:5], 0x4
	s_load_dwordx4 s[0:3], s[6:7], 0x8
	v_and_b32_e32 v4, 0x3ff, v0
	v_bfe_u32 v2, v0, 10, 10
	s_waitcnt lgkmcnt(0)
	s_and_b32 s4, 1, s15
	s_lshr_b32 s5, s10, 16
	s_mul_i32 s5, s5, s11
	v_mul_lo_u32 v1, s5, v4
	v_mad_u32_u24 v1, v2, s11, v1
	v_bfe_u32 v0, v0, 20, 10
	s_cmp_eq_u32 s4, 1
	v_add_lshl_u32 v2, v1, v0, 3
	v_add_u32_e32 v3, 0x100, v2
	v_pk_mov_b32 v[0:1], s[0:1], s[0:1] op_sel:[0,1]
	s_cselect_b64 vcc, -1, 0
	ds_write_b64 v2, v[0:1] offset:256
	s_mov_b64 s[4:5], src_shared_base
	v_cndmask_b32_e32 v0, v0, v3, vcc
	s_and_b64 vcc, vcc, exec
	s_cselect_b32 s4, s5, s1
	v_mov_b32_e32 v1, s4
	flat_load_dwordx2 v[0:1], v[0:1]
	v_pk_mov_b32 v[2:3], s[2:3], s[2:3] op_sel:[0,1]
	s_cbranch_vccnz .LBB11_2
; %bb.1:
	v_pk_mov_b32 v[2:3], s[0:1], s[0:1] op_sel:[0,1]
	flat_load_dwordx2 v[2:3], v[2:3] offset:8
.LBB11_2:
	s_load_dword s1, s[6:7], 0x0
	v_lshrrev_b32_e32 v5, 6, v4
	v_readfirstlane_b32 s15, v5
	s_lshl_b32 s0, s8, 4
	s_add_i32 s0, s15, s0
	s_waitcnt lgkmcnt(0)
	s_cmp_ge_i32 s0, s1
	s_cbranch_scc1 .LBB11_46
; %bb.3:
	s_load_dword s1, s[6:7], 0x58
	s_load_dwordx2 s[2:3], s[6:7], 0x50
	v_and_b32_e32 v16, 63, v4
	v_pk_mov_b32 v[8:9], 0, 0
	v_cmp_eq_u32_e32 vcc, 0, v16
	s_waitcnt lgkmcnt(0)
	s_add_i32 s0, s0, s1
	s_ashr_i32 s1, s0, 31
	s_lshl_b64 s[0:1], s[0:1], 2
	s_add_u32 s0, s2, s0
	s_addc_u32 s1, s3, s1
	s_load_dword s20, s[0:1], 0x0
	s_load_dwordx2 s[2:3], s[6:7], 0x18
	s_load_dwordx4 s[8:11], s[6:7], 0x40
	v_pk_mov_b32 v[4:5], v[8:9], v[8:9] op_sel:[0,1]
	s_waitcnt lgkmcnt(0)
	s_ashr_i32 s21, s20, 31
	s_lshl_b64 s[22:23], s[20:21], 2
	s_add_u32 s0, s2, s22
	s_addc_u32 s1, s3, s23
	s_load_dwordx2 s[0:1], s[0:1], 0x0
	s_and_saveexec_b64 s[2:3], vcc
	s_cbranch_execz .LBB11_5
; %bb.4:
	s_load_dwordx4 s[16:19], s[6:7], 0x30
	s_waitcnt lgkmcnt(0)
	s_mul_i32 s5, s20, s19
	s_mul_hi_u32 s19, s20, s18
	s_mul_i32 s24, s21, s18
	s_add_i32 s5, s19, s5
	s_mul_i32 s4, s20, s18
	s_add_i32 s5, s5, s24
	s_lshl_b64 s[4:5], s[4:5], 4
	s_add_u32 s4, s16, s4
	s_addc_u32 s5, s17, s5
	s_load_dwordx4 s[16:19], s[4:5], 0x0
	s_waitcnt vmcnt(0) lgkmcnt(0)
	v_mul_f64 v[8:9], s[18:19], -v[2:3]
	v_mul_f64 v[4:5], v[0:1], s[18:19]
	v_fmac_f64_e32 v[8:9], s[16:17], v[0:1]
	v_fmac_f64_e32 v[4:5], s[16:17], v[2:3]
.LBB11_5:
	s_or_b64 exec, exec, s[2:3]
	s_waitcnt vmcnt(0)
	v_subrev_u32_e32 v0, s12, v16
	s_waitcnt lgkmcnt(0)
	s_sub_i32 s33, s1, s12
	v_add_u32_e32 v6, s0, v0
	v_cmp_gt_i32_e32 vcc, s33, v6
	s_and_saveexec_b64 s[24:25], vcc
	s_cbranch_execz .LBB11_43
; %bb.6:
	s_load_dwordx2 s[26:27], s[6:7], 0x60
	s_load_dwordx4 s[16:19], s[6:7], 0x20
	s_cmp_eq_u32 s14, 0
	s_cselect_b64 s[6:7], -1, 0
	v_cndmask_b32_e64 v0, 0, 1, s[6:7]
	s_add_i32 s38, s20, s12
	s_lshl_b32 s39, s15, 4
	s_mov_b64 s[28:29], 0
	s_waitcnt lgkmcnt(0)
	v_mov_b32_e32 v17, s17
	v_mov_b32_e32 v18, s19
	;; [unrolled: 1-line block ×3, first 2 shown]
	v_cmp_ne_u32_e64 s[0:1], 1, v0
	s_branch .LBB11_8
.LBB11_7:                               ;   in Loop: Header=BB11_8 Depth=1
	s_or_b64 exec, exec, s[30:31]
	s_and_b64 s[2:3], exec, s[2:3]
	s_or_b64 s[28:29], s[2:3], s[28:29]
	v_pk_mov_b32 v[4:5], v[12:13], v[12:13] op_sel:[0,1]
	v_pk_mov_b32 v[8:9], v[14:15], v[14:15] op_sel:[0,1]
	s_andn2_b64 exec, exec, s[28:29]
	s_cbranch_execz .LBB11_42
.LBB11_8:                               ; =>This Loop Header: Depth=1
                                        ;     Child Loop BB11_33 Depth 2
	v_ashrrev_i32_e32 v7, 31, v6
	v_lshlrev_b64 v[0:1], 2, v[6:7]
	v_add_co_u32_e32 v0, vcc, s16, v0
	v_addc_co_u32_e32 v1, vcc, v17, v1, vcc
	global_load_dword v10, v[0:1], off glc slc
	v_lshlrev_b64 v[0:1], 4, v[6:7]
	v_add_co_u32_e32 v0, vcc, s18, v0
	v_addc_co_u32_e32 v1, vcc, v18, v1, vcc
	global_load_dwordx4 v[0:3], v[0:1], off glc slc
	s_waitcnt vmcnt(1)
	v_subrev_u32_e32 v10, s12, v10
	s_waitcnt vmcnt(0)
	v_cmp_eq_f64_e32 vcc, 0, v[0:1]
	v_cmp_eq_f64_e64 s[2:3], 0, v[2:3]
	s_and_b64 s[2:3], vcc, s[2:3]
	v_cmp_eq_u32_e32 vcc, s20, v10
	s_and_b64 s[2:3], s[2:3], vcc
	s_and_b64 s[2:3], s[6:7], s[2:3]
	s_and_saveexec_b64 s[4:5], s[2:3]
	s_cbranch_execz .LBB11_12
; %bb.9:                                ;   in Loop: Header=BB11_8 Depth=1
	v_mbcnt_lo_u32_b32 v0, exec_lo, 0
	v_mbcnt_hi_u32_b32 v0, exec_hi, v0
	v_cmp_eq_u32_e64 s[2:3], 0, v0
	s_and_saveexec_b64 s[30:31], s[2:3]
	s_cbranch_execz .LBB11_11
; %bb.10:                               ;   in Loop: Header=BB11_8 Depth=1
	v_mov_b32_e32 v0, s38
	global_atomic_smin v19, v0, s[26:27]
.LBB11_11:                              ;   in Loop: Header=BB11_8 Depth=1
	s_or_b64 exec, exec, s[30:31]
	v_mov_b32_e32 v0, 0
	v_mov_b32_e32 v1, 0x3ff00000
	v_pk_mov_b32 v[2:3], 0, 0
.LBB11_12:                              ;   in Loop: Header=BB11_8 Depth=1
	s_or_b64 exec, exec, s[4:5]
	v_cmp_ne_u32_e64 s[2:3], s20, v10
	s_cmp_lt_i32 s13, 1
	s_mov_b64 s[30:31], 0
	s_cbranch_scc1 .LBB11_21
; %bb.13:                               ;   in Loop: Header=BB11_8 Depth=1
	s_cmp_eq_u32 s13, 1
	s_cbranch_scc0 .LBB11_22
; %bb.14:                               ;   in Loop: Header=BB11_8 Depth=1
	v_cmp_le_i32_e64 s[4:5], s20, v10
	s_mov_b64 s[34:35], 0
	s_and_saveexec_b64 s[36:37], s[4:5]
	s_cbranch_execz .LBB11_20
; %bb.15:                               ;   in Loop: Header=BB11_8 Depth=1
	s_mov_b64 s[34:35], -1
	s_and_saveexec_b64 s[4:5], vcc
	s_xor_b64 s[4:5], exec, s[4:5]
	s_cbranch_execz .LBB11_19
; %bb.16:                               ;   in Loop: Header=BB11_8 Depth=1
	s_and_b64 vcc, exec, s[0:1]
	s_cbranch_vccnz .LBB11_18
; %bb.17:                               ;   in Loop: Header=BB11_8 Depth=1
	v_mul_f64 v[12:13], v[2:3], v[2:3]
	v_fmac_f64_e32 v[12:13], v[0:1], v[0:1]
	v_div_scale_f64 v[14:15], s[34:35], v[12:13], v[12:13], 1.0
	v_rcp_f64_e32 v[20:21], v[14:15]
	v_div_scale_f64 v[22:23], vcc, 1.0, v[12:13], 1.0
	v_mov_b32_e32 v7, s39
	v_fma_f64 v[24:25], -v[14:15], v[20:21], 1.0
	v_fmac_f64_e32 v[20:21], v[20:21], v[24:25]
	v_fma_f64 v[24:25], -v[14:15], v[20:21], 1.0
	v_fmac_f64_e32 v[20:21], v[20:21], v[24:25]
	v_mul_f64 v[24:25], v[22:23], v[20:21]
	v_fma_f64 v[14:15], -v[14:15], v[24:25], v[22:23]
	v_div_fmas_f64 v[14:15], v[14:15], v[20:21], v[24:25]
	v_div_fixup_f64 v[14:15], v[14:15], v[12:13], 1.0
	v_fma_f64 v[12:13], 0, v[2:3], v[0:1]
	v_fma_f64 v[20:21], v[0:1], 0, -v[2:3]
	v_mul_f64 v[12:13], v[12:13], v[14:15]
	v_mul_f64 v[14:15], v[20:21], v[14:15]
	ds_write_b128 v7, v[12:15]
.LBB11_18:                              ;   in Loop: Header=BB11_8 Depth=1
	s_xor_b64 s[34:35], exec, -1
.LBB11_19:                              ;   in Loop: Header=BB11_8 Depth=1
	s_or_b64 exec, exec, s[4:5]
	s_and_b64 s[34:35], s[34:35], exec
.LBB11_20:                              ;   in Loop: Header=BB11_8 Depth=1
	s_or_b64 exec, exec, s[36:37]
	s_mov_b32 s17, 4
	v_pk_mov_b32 v[12:13], v[4:5], v[4:5] op_sel:[0,1]
	v_pk_mov_b32 v[14:15], v[8:9], v[8:9] op_sel:[0,1]
	s_branch .LBB11_23
.LBB11_21:                              ;   in Loop: Header=BB11_8 Depth=1
	s_mov_b64 s[34:35], 0
                                        ; implicit-def: $sgpr17
                                        ; implicit-def: $vgpr12_vgpr13
                                        ; implicit-def: $vgpr14_vgpr15
	s_cbranch_execnz .LBB11_24
	s_branch .LBB11_26
.LBB11_22:                              ;   in Loop: Header=BB11_8 Depth=1
	s_mov_b64 s[34:35], -1
                                        ; implicit-def: $sgpr17
                                        ; implicit-def: $vgpr12_vgpr13
                                        ; implicit-def: $vgpr14_vgpr15
.LBB11_23:                              ;   in Loop: Header=BB11_8 Depth=1
	s_branch .LBB11_26
.LBB11_24:                              ;   in Loop: Header=BB11_8 Depth=1
	s_cmp_eq_u32 s13, 0
	s_cbranch_scc1 .LBB11_28
; %bb.25:                               ;   in Loop: Header=BB11_8 Depth=1
	s_mov_b64 s[34:35], -1
                                        ; implicit-def: $sgpr17
                                        ; implicit-def: $vgpr12_vgpr13
                                        ; implicit-def: $vgpr14_vgpr15
.LBB11_26:                              ;   in Loop: Header=BB11_8 Depth=1
	v_mov_b32_e32 v7, s17
	s_and_saveexec_b64 s[2:3], s[34:35]
	s_cbranch_execnz .LBB11_31
.LBB11_27:                              ;   in Loop: Header=BB11_8 Depth=1
	s_or_b64 exec, exec, s[2:3]
	s_and_saveexec_b64 s[2:3], s[30:31]
	s_cbranch_execnz .LBB11_35
	s_branch .LBB11_38
.LBB11_28:                              ;   in Loop: Header=BB11_8 Depth=1
	v_cmp_ge_i32_e32 vcc, s20, v10
	s_mov_b64 s[34:35], 0
	s_and_saveexec_b64 s[4:5], vcc
; %bb.29:                               ;   in Loop: Header=BB11_8 Depth=1
	s_mov_b64 s[30:31], exec
	s_and_b64 s[34:35], s[2:3], exec
; %bb.30:                               ;   in Loop: Header=BB11_8 Depth=1
	s_or_b64 exec, exec, s[4:5]
	s_mov_b32 s17, 2
	v_pk_mov_b32 v[12:13], v[4:5], v[4:5] op_sel:[0,1]
	v_pk_mov_b32 v[14:15], v[8:9], v[8:9] op_sel:[0,1]
	v_mov_b32_e32 v7, s17
	s_and_saveexec_b64 s[2:3], s[34:35]
	s_cbranch_execz .LBB11_27
.LBB11_31:                              ;   in Loop: Header=BB11_8 Depth=1
	v_ashrrev_i32_e32 v11, 31, v10
	v_lshlrev_b64 v[12:13], 2, v[10:11]
	v_mov_b32_e32 v7, s11
	v_add_co_u32_e32 v12, vcc, s10, v12
	v_addc_co_u32_e32 v13, vcc, v7, v13, vcc
	global_load_dword v7, v[12:13], off glc
	s_waitcnt vmcnt(0)
	v_cmp_eq_u32_e32 vcc, 0, v7
	s_and_saveexec_b64 s[4:5], vcc
	s_cbranch_execz .LBB11_34
; %bb.32:                               ;   in Loop: Header=BB11_8 Depth=1
	s_mov_b64 s[34:35], 0
.LBB11_33:                              ;   Parent Loop BB11_8 Depth=1
                                        ; =>  This Inner Loop Header: Depth=2
	global_load_dword v7, v[12:13], off glc
	s_waitcnt vmcnt(0)
	v_cmp_ne_u32_e32 vcc, 0, v7
	s_or_b64 s[34:35], vcc, s[34:35]
	s_andn2_b64 exec, exec, s[34:35]
	s_cbranch_execnz .LBB11_33
.LBB11_34:                              ;   in Loop: Header=BB11_8 Depth=1
	s_or_b64 exec, exec, s[4:5]
	v_lshlrev_b64 v[10:11], 4, v[10:11]
	v_mov_b32_e32 v7, s9
	v_add_co_u32_e32 v10, vcc, s8, v10
	v_addc_co_u32_e32 v11, vcc, v7, v11, vcc
	s_waitcnt lgkmcnt(0)
	buffer_wbinvl1_vol
	global_load_dwordx4 v[10:13], v[10:11], off
	v_mov_b32_e32 v7, 0
	s_andn2_b64 s[30:31], s[30:31], exec
	s_waitcnt vmcnt(0)
	v_fma_f64 v[14:15], -v[0:1], v[10:11], v[8:9]
	v_fma_f64 v[10:11], -v[2:3], v[10:11], v[4:5]
	v_fmac_f64_e32 v[14:15], v[2:3], v[12:13]
	v_fma_f64 v[12:13], -v[0:1], v[12:13], v[10:11]
	s_or_b64 exec, exec, s[2:3]
	s_and_saveexec_b64 s[2:3], s[30:31]
	s_cbranch_execz .LBB11_38
.LBB11_35:                              ;   in Loop: Header=BB11_8 Depth=1
	s_and_b64 vcc, exec, s[0:1]
	s_cbranch_vccnz .LBB11_37
; %bb.36:                               ;   in Loop: Header=BB11_8 Depth=1
	v_mul_f64 v[10:11], v[2:3], v[2:3]
	v_fmac_f64_e32 v[10:11], v[0:1], v[0:1]
	v_div_scale_f64 v[12:13], s[4:5], v[10:11], v[10:11], 1.0
	v_rcp_f64_e32 v[14:15], v[12:13]
	v_div_scale_f64 v[20:21], vcc, 1.0, v[10:11], 1.0
	v_fma_f64 v[22:23], -v[12:13], v[14:15], 1.0
	v_fmac_f64_e32 v[14:15], v[14:15], v[22:23]
	v_fma_f64 v[22:23], -v[12:13], v[14:15], 1.0
	v_fmac_f64_e32 v[14:15], v[14:15], v[22:23]
	v_mul_f64 v[22:23], v[20:21], v[14:15]
	v_fma_f64 v[12:13], -v[12:13], v[22:23], v[20:21]
	v_div_fmas_f64 v[12:13], v[12:13], v[14:15], v[22:23]
	v_div_fixup_f64 v[12:13], v[12:13], v[10:11], 1.0
	v_fma_f64 v[10:11], 0, v[2:3], v[0:1]
	v_fma_f64 v[0:1], v[0:1], 0, -v[2:3]
	v_mul_f64 v[10:11], v[10:11], v[12:13]
	v_mul_f64 v[12:13], v[0:1], v[12:13]
	v_mov_b32_e32 v0, s39
	ds_write_b128 v0, v[10:13]
.LBB11_37:                              ;   in Loop: Header=BB11_8 Depth=1
	v_mov_b32_e32 v7, 2
	v_pk_mov_b32 v[14:15], v[8:9], v[8:9] op_sel:[0,1]
	v_pk_mov_b32 v[12:13], v[4:5], v[4:5] op_sel:[0,1]
.LBB11_38:                              ;   in Loop: Header=BB11_8 Depth=1
	s_or_b64 exec, exec, s[2:3]
	v_cmp_gt_i32_e32 vcc, 4, v7
	s_mov_b64 s[2:3], -1
	s_mov_b64 s[4:5], -1
	s_and_saveexec_b64 s[30:31], vcc
; %bb.39:                               ;   in Loop: Header=BB11_8 Depth=1
	v_cmp_eq_u32_e32 vcc, 0, v7
	s_orn2_b64 s[4:5], vcc, exec
; %bb.40:                               ;   in Loop: Header=BB11_8 Depth=1
	s_or_b64 exec, exec, s[30:31]
	s_and_saveexec_b64 s[30:31], s[4:5]
	s_cbranch_execz .LBB11_7
; %bb.41:                               ;   in Loop: Header=BB11_8 Depth=1
	v_add_u32_e32 v6, 64, v6
	v_cmp_le_i32_e32 vcc, s33, v6
	s_orn2_b64 s[2:3], vcc, exec
	s_branch .LBB11_7
.LBB11_42:
	s_or_b64 exec, exec, s[28:29]
	v_pk_mov_b32 v[4:5], v[12:13], v[12:13] op_sel:[0,1]
	v_pk_mov_b32 v[8:9], v[14:15], v[14:15] op_sel:[0,1]
.LBB11_43:
	s_or_b64 exec, exec, s[24:25]
	s_nop 0
	v_mov_b32_dpp v0, v8 row_shr:1 row_mask:0xf bank_mask:0xf
	v_mov_b32_dpp v1, v9 row_shr:1 row_mask:0xf bank_mask:0xf
	v_add_f64 v[0:1], v[8:9], v[0:1]
	s_cmp_lg_u32 s14, 0
	s_nop 0
	v_mov_b32_dpp v2, v0 row_shr:2 row_mask:0xf bank_mask:0xf
	v_mov_b32_dpp v3, v1 row_shr:2 row_mask:0xf bank_mask:0xf
	v_add_f64 v[0:1], v[0:1], v[2:3]
	s_nop 1
	v_mov_b32_dpp v2, v0 row_shr:4 row_mask:0xf bank_mask:0xe
	v_mov_b32_dpp v3, v1 row_shr:4 row_mask:0xf bank_mask:0xe
	v_add_f64 v[0:1], v[0:1], v[2:3]
	;; [unrolled: 4-line block ×3, first 2 shown]
	s_nop 1
	v_mov_b32_dpp v2, v0 row_bcast:15 row_mask:0xa bank_mask:0xf
	v_mov_b32_dpp v3, v1 row_bcast:15 row_mask:0xa bank_mask:0xf
	v_add_f64 v[0:1], v[0:1], v[2:3]
	s_nop 1
	v_mov_b32_dpp v2, v0 row_bcast:31 row_mask:0xc bank_mask:0xf
	v_mov_b32_dpp v3, v1 row_bcast:31 row_mask:0xc bank_mask:0xf
	v_add_f64 v[0:1], v[0:1], v[2:3]
	v_mov_b32_dpp v2, v4 row_shr:1 row_mask:0xf bank_mask:0xf
	v_mov_b32_dpp v3, v5 row_shr:1 row_mask:0xf bank_mask:0xf
	v_add_f64 v[2:3], v[4:5], v[2:3]
	s_nop 1
	v_mov_b32_dpp v4, v2 row_shr:2 row_mask:0xf bank_mask:0xf
	v_mov_b32_dpp v5, v3 row_shr:2 row_mask:0xf bank_mask:0xf
	v_add_f64 v[2:3], v[2:3], v[4:5]
	s_nop 1
	;; [unrolled: 4-line block ×4, first 2 shown]
	v_mov_b32_dpp v4, v2 row_bcast:15 row_mask:0xa bank_mask:0xf
	v_mov_b32_dpp v5, v3 row_bcast:15 row_mask:0xa bank_mask:0xf
	v_add_f64 v[2:3], v[2:3], v[4:5]
	s_nop 1
	v_mov_b32_dpp v4, v2 row_bcast:31 row_mask:0xc bank_mask:0xf
	v_mov_b32_dpp v5, v3 row_bcast:31 row_mask:0xc bank_mask:0xf
	v_add_f64 v[2:3], v[2:3], v[4:5]
	s_cbranch_scc0 .LBB11_47
; %bb.44:
	v_cmp_eq_u32_e32 vcc, 63, v16
	s_and_saveexec_b64 s[0:1], vcc
	s_cbranch_execz .LBB11_46
.LBB11_45:
	s_lshl_b64 s[0:1], s[20:21], 4
	s_add_u32 s0, s8, s0
	s_addc_u32 s1, s9, s1
	v_mov_b32_e32 v4, 0
	s_add_u32 s2, s10, s22
	s_addc_u32 s3, s11, s23
	global_store_dwordx4 v4, v[0:3], s[0:1] glc slc
	s_nop 0
	v_mov_b32_e32 v0, 1
	s_waitcnt vmcnt(0)
	global_store_dword v4, v0, s[2:3]
.LBB11_46:
	s_endpgm
.LBB11_47:
	s_lshl_b32 s0, s15, 4
	v_mov_b32_e32 v4, s0
	s_waitcnt lgkmcnt(0)
	ds_read_b128 v[4:7], v4
	s_waitcnt lgkmcnt(0)
	v_mul_f64 v[8:9], v[6:7], -v[2:3]
	v_mul_f64 v[6:7], v[0:1], v[6:7]
	v_fmac_f64_e32 v[8:9], v[0:1], v[4:5]
	v_fmac_f64_e32 v[6:7], v[2:3], v[4:5]
	v_pk_mov_b32 v[0:1], v[8:9], v[8:9] op_sel:[0,1]
	v_pk_mov_b32 v[2:3], v[6:7], v[6:7] op_sel:[0,1]
	v_cmp_eq_u32_e32 vcc, 63, v16
	s_and_saveexec_b64 s[0:1], vcc
	s_cbranch_execnz .LBB11_45
	s_branch .LBB11_46
	.section	.rodata,"a",@progbits
	.p2align	6, 0x0
	.amdhsa_kernel _ZN9rocsparseL12csrsv_kernelILj1024ELj64ELb0Eii21rocsparse_complex_numIdEEEvT3_NS_24const_host_device_scalarIT4_EEPKT2_PKS3_PKS5_SD_lPS5_PiSB_iPS3_21rocsparse_index_base_20rocsparse_fill_mode_20rocsparse_diag_type_b
		.amdhsa_group_segment_fixed_size 8448
		.amdhsa_private_segment_fixed_size 0
		.amdhsa_kernarg_size 120
		.amdhsa_user_sgpr_count 8
		.amdhsa_user_sgpr_private_segment_buffer 1
		.amdhsa_user_sgpr_dispatch_ptr 1
		.amdhsa_user_sgpr_queue_ptr 0
		.amdhsa_user_sgpr_kernarg_segment_ptr 1
		.amdhsa_user_sgpr_dispatch_id 0
		.amdhsa_user_sgpr_flat_scratch_init 0
		.amdhsa_user_sgpr_kernarg_preload_length 0
		.amdhsa_user_sgpr_kernarg_preload_offset 0
		.amdhsa_user_sgpr_private_segment_size 0
		.amdhsa_uses_dynamic_stack 0
		.amdhsa_system_sgpr_private_segment_wavefront_offset 0
		.amdhsa_system_sgpr_workgroup_id_x 1
		.amdhsa_system_sgpr_workgroup_id_y 0
		.amdhsa_system_sgpr_workgroup_id_z 0
		.amdhsa_system_sgpr_workgroup_info 0
		.amdhsa_system_vgpr_workitem_id 2
		.amdhsa_next_free_vgpr 26
		.amdhsa_next_free_sgpr 40
		.amdhsa_accum_offset 28
		.amdhsa_reserve_vcc 1
		.amdhsa_reserve_flat_scratch 0
		.amdhsa_float_round_mode_32 0
		.amdhsa_float_round_mode_16_64 0
		.amdhsa_float_denorm_mode_32 3
		.amdhsa_float_denorm_mode_16_64 3
		.amdhsa_dx10_clamp 1
		.amdhsa_ieee_mode 1
		.amdhsa_fp16_overflow 0
		.amdhsa_tg_split 0
		.amdhsa_exception_fp_ieee_invalid_op 0
		.amdhsa_exception_fp_denorm_src 0
		.amdhsa_exception_fp_ieee_div_zero 0
		.amdhsa_exception_fp_ieee_overflow 0
		.amdhsa_exception_fp_ieee_underflow 0
		.amdhsa_exception_fp_ieee_inexact 0
		.amdhsa_exception_int_div_zero 0
	.end_amdhsa_kernel
	.section	.text._ZN9rocsparseL12csrsv_kernelILj1024ELj64ELb0Eii21rocsparse_complex_numIdEEEvT3_NS_24const_host_device_scalarIT4_EEPKT2_PKS3_PKS5_SD_lPS5_PiSB_iPS3_21rocsparse_index_base_20rocsparse_fill_mode_20rocsparse_diag_type_b,"axG",@progbits,_ZN9rocsparseL12csrsv_kernelILj1024ELj64ELb0Eii21rocsparse_complex_numIdEEEvT3_NS_24const_host_device_scalarIT4_EEPKT2_PKS3_PKS5_SD_lPS5_PiSB_iPS3_21rocsparse_index_base_20rocsparse_fill_mode_20rocsparse_diag_type_b,comdat
.Lfunc_end11:
	.size	_ZN9rocsparseL12csrsv_kernelILj1024ELj64ELb0Eii21rocsparse_complex_numIdEEEvT3_NS_24const_host_device_scalarIT4_EEPKT2_PKS3_PKS5_SD_lPS5_PiSB_iPS3_21rocsparse_index_base_20rocsparse_fill_mode_20rocsparse_diag_type_b, .Lfunc_end11-_ZN9rocsparseL12csrsv_kernelILj1024ELj64ELb0Eii21rocsparse_complex_numIdEEEvT3_NS_24const_host_device_scalarIT4_EEPKT2_PKS3_PKS5_SD_lPS5_PiSB_iPS3_21rocsparse_index_base_20rocsparse_fill_mode_20rocsparse_diag_type_b
                                        ; -- End function
	.section	.AMDGPU.csdata,"",@progbits
; Kernel info:
; codeLenInByte = 2000
; NumSgprs: 44
; NumVgprs: 26
; NumAgprs: 0
; TotalNumVgprs: 26
; ScratchSize: 0
; MemoryBound: 0
; FloatMode: 240
; IeeeMode: 1
; LDSByteSize: 8448 bytes/workgroup (compile time only)
; SGPRBlocks: 5
; VGPRBlocks: 3
; NumSGPRsForWavesPerEU: 44
; NumVGPRsForWavesPerEU: 26
; AccumOffset: 28
; Occupancy: 8
; WaveLimiterHint : 1
; COMPUTE_PGM_RSRC2:SCRATCH_EN: 0
; COMPUTE_PGM_RSRC2:USER_SGPR: 8
; COMPUTE_PGM_RSRC2:TRAP_HANDLER: 0
; COMPUTE_PGM_RSRC2:TGID_X_EN: 1
; COMPUTE_PGM_RSRC2:TGID_Y_EN: 0
; COMPUTE_PGM_RSRC2:TGID_Z_EN: 0
; COMPUTE_PGM_RSRC2:TIDIG_COMP_CNT: 2
; COMPUTE_PGM_RSRC3_GFX90A:ACCUM_OFFSET: 6
; COMPUTE_PGM_RSRC3_GFX90A:TG_SPLIT: 0
	.section	.text._ZN9rocsparseL12csrsv_kernelILj1024ELj64ELb1ElifEEvT3_NS_24const_host_device_scalarIT4_EEPKT2_PKS1_PKS3_SB_lPS3_PiS9_iPS1_21rocsparse_index_base_20rocsparse_fill_mode_20rocsparse_diag_type_b,"axG",@progbits,_ZN9rocsparseL12csrsv_kernelILj1024ELj64ELb1ElifEEvT3_NS_24const_host_device_scalarIT4_EEPKT2_PKS1_PKS3_SB_lPS3_PiS9_iPS1_21rocsparse_index_base_20rocsparse_fill_mode_20rocsparse_diag_type_b,comdat
	.globl	_ZN9rocsparseL12csrsv_kernelILj1024ELj64ELb1ElifEEvT3_NS_24const_host_device_scalarIT4_EEPKT2_PKS1_PKS3_SB_lPS3_PiS9_iPS1_21rocsparse_index_base_20rocsparse_fill_mode_20rocsparse_diag_type_b ; -- Begin function _ZN9rocsparseL12csrsv_kernelILj1024ELj64ELb1ElifEEvT3_NS_24const_host_device_scalarIT4_EEPKT2_PKS1_PKS3_SB_lPS3_PiS9_iPS1_21rocsparse_index_base_20rocsparse_fill_mode_20rocsparse_diag_type_b
	.p2align	8
	.type	_ZN9rocsparseL12csrsv_kernelILj1024ELj64ELb1ElifEEvT3_NS_24const_host_device_scalarIT4_EEPKT2_PKS1_PKS3_SB_lPS3_PiS9_iPS1_21rocsparse_index_base_20rocsparse_fill_mode_20rocsparse_diag_type_b,@function
_ZN9rocsparseL12csrsv_kernelILj1024ELj64ELb1ElifEEvT3_NS_24const_host_device_scalarIT4_EEPKT2_PKS1_PKS3_SB_lPS3_PiS9_iPS1_21rocsparse_index_base_20rocsparse_fill_mode_20rocsparse_diag_type_b: ; @_ZN9rocsparseL12csrsv_kernelILj1024ELj64ELb1ElifEEvT3_NS_24const_host_device_scalarIT4_EEPKT2_PKS1_PKS3_SB_lPS3_PiS9_iPS1_21rocsparse_index_base_20rocsparse_fill_mode_20rocsparse_diag_type_b
; %bb.0:
	s_load_dwordx4 s[8:11], s[4:5], 0x60
	s_load_dwordx2 s[16:17], s[4:5], 0x8
	s_waitcnt lgkmcnt(0)
	s_bitcmp1_b32 s11, 0
	s_cselect_b64 s[0:1], -1, 0
	s_and_b64 vcc, exec, s[0:1]
	s_cbranch_vccnz .LBB12_2
; %bb.1:
	s_load_dword s16, s[16:17], 0x0
.LBB12_2:
	s_nop 0
	s_load_dword s1, s[4:5], 0x0
	v_lshrrev_b32_e32 v1, 6, v0
	v_readfirstlane_b32 s11, v1
	s_lshl_b32 s0, s6, 4
	s_add_i32 s0, s11, s0
	s_waitcnt lgkmcnt(0)
	s_cmp_ge_i32 s0, s1
	s_cbranch_scc1 .LBB12_48
; %bb.3:
	s_load_dword s1, s[4:5], 0x50
	s_load_dwordx2 s[2:3], s[4:5], 0x48
	v_and_b32_e32 v6, 63, v0
	v_cmp_eq_u32_e32 vcc, 0, v6
	v_mov_b32_e32 v8, 0
	s_waitcnt lgkmcnt(0)
	s_add_i32 s0, s0, s1
	s_ashr_i32 s1, s0, 31
	s_lshl_b64 s[0:1], s[0:1], 2
	s_add_u32 s0, s2, s0
	s_addc_u32 s1, s3, s1
	s_load_dword s6, s[0:1], 0x0
	s_load_dwordx2 s[2:3], s[4:5], 0x10
	s_load_dwordx4 s[12:15], s[4:5], 0x38
	s_waitcnt lgkmcnt(0)
	s_ashr_i32 s7, s6, 31
	s_lshl_b64 s[0:1], s[6:7], 3
	s_add_u32 s0, s2, s0
	s_addc_u32 s1, s3, s1
	s_load_dwordx4 s[0:3], s[0:1], 0x0
	s_and_saveexec_b64 s[18:19], vcc
	s_cbranch_execz .LBB12_5
; %bb.4:
	s_load_dwordx4 s[20:23], s[4:5], 0x28
	s_waitcnt lgkmcnt(0)
	s_mul_i32 s17, s6, s23
	s_mul_hi_u32 s23, s6, s22
	s_mul_i32 s24, s7, s22
	s_add_i32 s17, s23, s17
	s_add_i32 s23, s17, s24
	s_mul_i32 s22, s6, s22
	s_lshl_b64 s[22:23], s[22:23], 2
	s_add_u32 s20, s20, s22
	s_addc_u32 s21, s21, s23
	s_load_dword s17, s[20:21], 0x0
	s_waitcnt lgkmcnt(0)
	v_mov_b32_e32 v0, s17
	v_mul_f32_e32 v8, s16, v0
.LBB12_5:
	s_or_b64 exec, exec, s[18:19]
	s_waitcnt lgkmcnt(0)
	s_sub_u32 s20, s2, s8
	v_subrev_co_u32_e32 v0, vcc, s8, v6
	s_subb_u32 s21, s3, 0
	v_subb_co_u32_e64 v1, s[2:3], 0, 0, vcc
	v_mov_b32_e32 v2, s1
	v_add_co_u32_e32 v0, vcc, s0, v0
	v_addc_co_u32_e32 v1, vcc, v2, v1, vcc
	v_cmp_gt_i64_e32 vcc, s[20:21], v[0:1]
	s_and_saveexec_b64 s[22:23], vcc
	s_cbranch_execz .LBB12_45
; %bb.6:
	s_load_dwordx2 s[24:25], s[4:5], 0x58
	s_load_dwordx4 s[16:19], s[4:5], 0x18
	s_cmp_eq_u32 s10, 0
	s_cselect_b64 s[26:27], -1, 0
	v_cndmask_b32_e64 v2, 0, 1, s[26:27]
	s_add_i32 s33, s6, s8
	s_lshl_b32 s38, s11, 2
	s_mov_b64 s[28:29], 0
	s_waitcnt lgkmcnt(0)
	v_mov_b32_e32 v7, s17
	v_mov_b32_e32 v9, s19
	;; [unrolled: 1-line block ×3, first 2 shown]
	v_cmp_ne_u32_e64 s[0:1], 1, v2
	s_branch .LBB12_8
.LBB12_7:                               ;   in Loop: Header=BB12_8 Depth=1
	s_or_b64 exec, exec, s[30:31]
	s_and_b64 s[2:3], exec, s[2:3]
	s_or_b64 s[28:29], s[2:3], s[28:29]
	v_mov_b32_e32 v8, v3
	s_andn2_b64 exec, exec, s[28:29]
	s_cbranch_execz .LBB12_44
.LBB12_8:                               ; =>This Loop Header: Depth=1
                                        ;     Child Loop BB12_34 Depth 2
                                        ;       Child Loop BB12_35 Depth 3
	v_lshlrev_b64 v[2:3], 2, v[0:1]
	v_add_co_u32_e32 v4, vcc, s16, v2
	v_addc_co_u32_e32 v5, vcc, v7, v3, vcc
	global_load_dword v4, v[4:5], off glc slc
	v_add_co_u32_e32 v2, vcc, s18, v2
	v_addc_co_u32_e32 v3, vcc, v9, v3, vcc
	global_load_dword v11, v[2:3], off glc slc
	s_waitcnt vmcnt(1)
	v_subrev_u32_e32 v2, s8, v4
	v_cmp_eq_u32_e32 vcc, s6, v2
	s_and_b64 s[4:5], s[26:27], vcc
	s_waitcnt vmcnt(0)
	v_cmp_eq_f32_e64 s[2:3], 0, v11
	s_and_b64 s[2:3], s[2:3], s[4:5]
	s_and_saveexec_b64 s[4:5], s[2:3]
	s_cbranch_execz .LBB12_12
; %bb.9:                                ;   in Loop: Header=BB12_8 Depth=1
	v_mbcnt_lo_u32_b32 v3, exec_lo, 0
	v_mbcnt_hi_u32_b32 v3, exec_hi, v3
	v_cmp_eq_u32_e64 s[2:3], 0, v3
	s_and_saveexec_b64 s[30:31], s[2:3]
	s_cbranch_execz .LBB12_11
; %bb.10:                               ;   in Loop: Header=BB12_8 Depth=1
	v_mov_b32_e32 v3, s33
	global_atomic_smin v10, v3, s[24:25]
.LBB12_11:                              ;   in Loop: Header=BB12_8 Depth=1
	s_or_b64 exec, exec, s[30:31]
	v_mov_b32_e32 v11, 1.0
.LBB12_12:                              ;   in Loop: Header=BB12_8 Depth=1
	s_or_b64 exec, exec, s[4:5]
	v_cmp_ne_u32_e64 s[2:3], s6, v2
	s_cmp_lt_i32 s9, 1
	s_mov_b64 s[30:31], 0
	s_cbranch_scc1 .LBB12_21
; %bb.13:                               ;   in Loop: Header=BB12_8 Depth=1
	s_cmp_eq_u32 s9, 1
	s_cbranch_scc0 .LBB12_22
; %bb.14:                               ;   in Loop: Header=BB12_8 Depth=1
	v_cmp_le_i32_e64 s[4:5], s6, v2
	s_mov_b64 s[34:35], 0
	s_and_saveexec_b64 s[36:37], s[4:5]
	s_cbranch_execz .LBB12_20
; %bb.15:                               ;   in Loop: Header=BB12_8 Depth=1
	s_mov_b64 s[34:35], -1
	s_and_saveexec_b64 s[4:5], vcc
	s_xor_b64 s[4:5], exec, s[4:5]
	s_cbranch_execz .LBB12_19
; %bb.16:                               ;   in Loop: Header=BB12_8 Depth=1
	s_and_b64 vcc, exec, s[0:1]
	s_cbranch_vccnz .LBB12_18
; %bb.17:                               ;   in Loop: Header=BB12_8 Depth=1
	v_div_scale_f32 v3, s[34:35], v11, v11, 1.0
	v_rcp_f32_e32 v4, v3
	v_div_scale_f32 v5, vcc, 1.0, v11, 1.0
	v_fma_f32 v12, -v3, v4, 1.0
	v_fmac_f32_e32 v4, v12, v4
	v_mul_f32_e32 v12, v5, v4
	v_fma_f32 v13, -v3, v12, v5
	v_fmac_f32_e32 v12, v13, v4
	v_fma_f32 v3, -v3, v12, v5
	v_div_fmas_f32 v3, v3, v4, v12
	v_div_fixup_f32 v3, v3, v11, 1.0
	v_mov_b32_e32 v4, s38
	ds_write_b32 v4, v3
.LBB12_18:                              ;   in Loop: Header=BB12_8 Depth=1
	s_xor_b64 s[34:35], exec, -1
.LBB12_19:                              ;   in Loop: Header=BB12_8 Depth=1
	s_or_b64 exec, exec, s[4:5]
	s_and_b64 s[34:35], s[34:35], exec
.LBB12_20:                              ;   in Loop: Header=BB12_8 Depth=1
	s_or_b64 exec, exec, s[36:37]
	s_mov_b32 s17, 4
	v_mov_b32_e32 v3, v8
	s_branch .LBB12_23
.LBB12_21:                              ;   in Loop: Header=BB12_8 Depth=1
	s_mov_b64 s[34:35], 0
                                        ; implicit-def: $sgpr17
                                        ; implicit-def: $vgpr3
	s_cbranch_execnz .LBB12_24
	s_branch .LBB12_26
.LBB12_22:                              ;   in Loop: Header=BB12_8 Depth=1
	s_mov_b64 s[34:35], -1
                                        ; implicit-def: $sgpr17
                                        ; implicit-def: $vgpr3
.LBB12_23:                              ;   in Loop: Header=BB12_8 Depth=1
	s_branch .LBB12_26
.LBB12_24:                              ;   in Loop: Header=BB12_8 Depth=1
	s_cmp_eq_u32 s9, 0
	s_cbranch_scc1 .LBB12_28
; %bb.25:                               ;   in Loop: Header=BB12_8 Depth=1
	s_mov_b64 s[34:35], -1
                                        ; implicit-def: $sgpr17
                                        ; implicit-def: $vgpr3
.LBB12_26:                              ;   in Loop: Header=BB12_8 Depth=1
	v_mov_b32_e32 v4, s17
	s_and_saveexec_b64 s[2:3], s[34:35]
	s_cbranch_execnz .LBB12_31
.LBB12_27:                              ;   in Loop: Header=BB12_8 Depth=1
	s_or_b64 exec, exec, s[2:3]
	s_and_saveexec_b64 s[2:3], s[30:31]
	s_cbranch_execnz .LBB12_37
	s_branch .LBB12_40
.LBB12_28:                              ;   in Loop: Header=BB12_8 Depth=1
	v_cmp_ge_i32_e32 vcc, s6, v2
	s_mov_b64 s[34:35], 0
	s_and_saveexec_b64 s[4:5], vcc
; %bb.29:                               ;   in Loop: Header=BB12_8 Depth=1
	s_mov_b64 s[30:31], exec
	s_and_b64 s[34:35], s[2:3], exec
; %bb.30:                               ;   in Loop: Header=BB12_8 Depth=1
	s_or_b64 exec, exec, s[4:5]
	s_mov_b32 s17, 2
	v_mov_b32_e32 v3, v8
	v_mov_b32_e32 v4, s17
	s_and_saveexec_b64 s[2:3], s[34:35]
	s_cbranch_execz .LBB12_27
.LBB12_31:                              ;   in Loop: Header=BB12_8 Depth=1
	v_ashrrev_i32_e32 v3, 31, v2
	v_lshlrev_b64 v[2:3], 2, v[2:3]
	v_mov_b32_e32 v5, s15
	v_add_co_u32_e32 v4, vcc, s14, v2
	v_addc_co_u32_e32 v5, vcc, v5, v3, vcc
	global_load_dword v12, v[4:5], off glc
	s_waitcnt vmcnt(0)
	v_cmp_eq_u32_e32 vcc, 0, v12
	s_and_saveexec_b64 s[4:5], vcc
	s_cbranch_execz .LBB12_36
; %bb.32:                               ;   in Loop: Header=BB12_8 Depth=1
	s_mov_b32 s17, 0
	s_mov_b64 s[34:35], 0
	s_branch .LBB12_34
.LBB12_33:                              ;   in Loop: Header=BB12_34 Depth=2
	global_load_dword v12, v[4:5], off glc
	s_cmpk_lt_u32 s17, 0xf43
	s_cselect_b64 s[36:37], -1, 0
	s_cmp_lg_u64 s[36:37], 0
	s_addc_u32 s17, s17, 0
	s_waitcnt vmcnt(0)
	v_cmp_ne_u32_e32 vcc, 0, v12
	s_or_b64 s[34:35], vcc, s[34:35]
	s_andn2_b64 exec, exec, s[34:35]
	s_cbranch_execz .LBB12_36
.LBB12_34:                              ;   Parent Loop BB12_8 Depth=1
                                        ; =>  This Loop Header: Depth=2
                                        ;       Child Loop BB12_35 Depth 3
	s_cmp_eq_u32 s17, 0
	s_mov_b32 s19, s17
	s_cbranch_scc1 .LBB12_33
.LBB12_35:                              ;   Parent Loop BB12_8 Depth=1
                                        ;     Parent Loop BB12_34 Depth=2
                                        ; =>    This Inner Loop Header: Depth=3
	s_add_i32 s19, s19, -1
	s_cmp_eq_u32 s19, 0
	s_sleep 1
	s_cbranch_scc0 .LBB12_35
	s_branch .LBB12_33
.LBB12_36:                              ;   in Loop: Header=BB12_8 Depth=1
	s_or_b64 exec, exec, s[4:5]
	v_mov_b32_e32 v4, s13
	v_add_co_u32_e32 v2, vcc, s12, v2
	v_addc_co_u32_e32 v3, vcc, v4, v3, vcc
	s_waitcnt lgkmcnt(0)
	buffer_wbinvl1_vol
	global_load_dword v2, v[2:3], off
	v_mov_b32_e32 v4, 0
	s_andn2_b64 s[30:31], s[30:31], exec
	s_waitcnt vmcnt(0)
	v_fma_f32 v3, -v11, v2, v8
	s_or_b64 exec, exec, s[2:3]
	s_and_saveexec_b64 s[2:3], s[30:31]
	s_cbranch_execz .LBB12_40
.LBB12_37:                              ;   in Loop: Header=BB12_8 Depth=1
	s_and_b64 vcc, exec, s[0:1]
	s_cbranch_vccnz .LBB12_39
; %bb.38:                               ;   in Loop: Header=BB12_8 Depth=1
	v_div_scale_f32 v2, s[4:5], v11, v11, 1.0
	v_rcp_f32_e32 v3, v2
	v_div_scale_f32 v4, vcc, 1.0, v11, 1.0
	v_fma_f32 v5, -v2, v3, 1.0
	v_fmac_f32_e32 v3, v5, v3
	v_mul_f32_e32 v5, v4, v3
	v_fma_f32 v12, -v2, v5, v4
	v_fmac_f32_e32 v5, v12, v3
	v_fma_f32 v2, -v2, v5, v4
	v_div_fmas_f32 v2, v2, v3, v5
	v_div_fixup_f32 v2, v2, v11, 1.0
	v_mov_b32_e32 v3, s38
	ds_write_b32 v3, v2
.LBB12_39:                              ;   in Loop: Header=BB12_8 Depth=1
	v_mov_b32_e32 v4, 2
	v_mov_b32_e32 v3, v8
.LBB12_40:                              ;   in Loop: Header=BB12_8 Depth=1
	s_or_b64 exec, exec, s[2:3]
	v_cmp_gt_i32_e32 vcc, 4, v4
	s_mov_b64 s[2:3], -1
	s_mov_b64 s[4:5], -1
	s_and_saveexec_b64 s[30:31], vcc
; %bb.41:                               ;   in Loop: Header=BB12_8 Depth=1
	v_cmp_eq_u32_e32 vcc, 0, v4
	s_orn2_b64 s[4:5], vcc, exec
; %bb.42:                               ;   in Loop: Header=BB12_8 Depth=1
	s_or_b64 exec, exec, s[30:31]
	s_and_saveexec_b64 s[30:31], s[4:5]
	s_cbranch_execz .LBB12_7
; %bb.43:                               ;   in Loop: Header=BB12_8 Depth=1
	v_add_co_u32_e32 v0, vcc, 64, v0
	v_addc_co_u32_e32 v1, vcc, 0, v1, vcc
	v_cmp_le_i64_e32 vcc, s[20:21], v[0:1]
	s_orn2_b64 s[2:3], vcc, exec
	s_branch .LBB12_7
.LBB12_44:
	s_or_b64 exec, exec, s[28:29]
	v_mov_b32_e32 v8, v3
.LBB12_45:
	s_or_b64 exec, exec, s[22:23]
	s_nop 0
	v_mov_b32_dpp v0, v8 row_shr:1 row_mask:0xf bank_mask:0xf
	v_add_f32_e32 v0, v8, v0
	s_cmp_lg_u32 s10, 0
	s_nop 0
	v_mov_b32_dpp v1, v0 row_shr:2 row_mask:0xf bank_mask:0xf
	v_add_f32_e32 v0, v0, v1
	s_nop 1
	v_mov_b32_dpp v1, v0 row_shr:4 row_mask:0xf bank_mask:0xe
	v_add_f32_e32 v0, v0, v1
	;; [unrolled: 3-line block ×3, first 2 shown]
	s_nop 1
	v_mov_b32_dpp v1, v0 row_bcast:15 row_mask:0xa bank_mask:0xf
	v_add_f32_e32 v0, v0, v1
	s_nop 1
	v_mov_b32_dpp v1, v0 row_bcast:31 row_mask:0xc bank_mask:0xf
	v_add_f32_e32 v0, v0, v1
	s_cbranch_scc0 .LBB12_49
; %bb.46:
	v_cmp_eq_u32_e32 vcc, 63, v6
	s_and_saveexec_b64 s[0:1], vcc
	s_cbranch_execz .LBB12_48
.LBB12_47:
	s_lshl_b64 s[0:1], s[6:7], 2
	s_add_u32 s2, s12, s0
	s_addc_u32 s3, s13, s1
	v_mov_b32_e32 v1, 0
	s_add_u32 s0, s14, s0
	s_addc_u32 s1, s15, s1
	global_store_dword v1, v0, s[2:3] glc slc
	v_mov_b32_e32 v0, 1
	s_waitcnt vmcnt(0)
	global_store_dword v1, v0, s[0:1]
.LBB12_48:
	s_endpgm
.LBB12_49:
	s_lshl_b32 s0, s11, 2
	v_mov_b32_e32 v1, s0
	s_waitcnt lgkmcnt(0)
	ds_read_b32 v1, v1
	s_waitcnt lgkmcnt(0)
	v_mul_f32_e32 v0, v0, v1
	v_cmp_eq_u32_e32 vcc, 63, v6
	s_and_saveexec_b64 s[0:1], vcc
	s_cbranch_execnz .LBB12_47
	s_branch .LBB12_48
	.section	.rodata,"a",@progbits
	.p2align	6, 0x0
	.amdhsa_kernel _ZN9rocsparseL12csrsv_kernelILj1024ELj64ELb1ElifEEvT3_NS_24const_host_device_scalarIT4_EEPKT2_PKS1_PKS3_SB_lPS3_PiS9_iPS1_21rocsparse_index_base_20rocsparse_fill_mode_20rocsparse_diag_type_b
		.amdhsa_group_segment_fixed_size 64
		.amdhsa_private_segment_fixed_size 0
		.amdhsa_kernarg_size 112
		.amdhsa_user_sgpr_count 6
		.amdhsa_user_sgpr_private_segment_buffer 1
		.amdhsa_user_sgpr_dispatch_ptr 0
		.amdhsa_user_sgpr_queue_ptr 0
		.amdhsa_user_sgpr_kernarg_segment_ptr 1
		.amdhsa_user_sgpr_dispatch_id 0
		.amdhsa_user_sgpr_flat_scratch_init 0
		.amdhsa_user_sgpr_kernarg_preload_length 0
		.amdhsa_user_sgpr_kernarg_preload_offset 0
		.amdhsa_user_sgpr_private_segment_size 0
		.amdhsa_uses_dynamic_stack 0
		.amdhsa_system_sgpr_private_segment_wavefront_offset 0
		.amdhsa_system_sgpr_workgroup_id_x 1
		.amdhsa_system_sgpr_workgroup_id_y 0
		.amdhsa_system_sgpr_workgroup_id_z 0
		.amdhsa_system_sgpr_workgroup_info 0
		.amdhsa_system_vgpr_workitem_id 0
		.amdhsa_next_free_vgpr 14
		.amdhsa_next_free_sgpr 39
		.amdhsa_accum_offset 16
		.amdhsa_reserve_vcc 1
		.amdhsa_reserve_flat_scratch 0
		.amdhsa_float_round_mode_32 0
		.amdhsa_float_round_mode_16_64 0
		.amdhsa_float_denorm_mode_32 3
		.amdhsa_float_denorm_mode_16_64 3
		.amdhsa_dx10_clamp 1
		.amdhsa_ieee_mode 1
		.amdhsa_fp16_overflow 0
		.amdhsa_tg_split 0
		.amdhsa_exception_fp_ieee_invalid_op 0
		.amdhsa_exception_fp_denorm_src 0
		.amdhsa_exception_fp_ieee_div_zero 0
		.amdhsa_exception_fp_ieee_overflow 0
		.amdhsa_exception_fp_ieee_underflow 0
		.amdhsa_exception_fp_ieee_inexact 0
		.amdhsa_exception_int_div_zero 0
	.end_amdhsa_kernel
	.section	.text._ZN9rocsparseL12csrsv_kernelILj1024ELj64ELb1ElifEEvT3_NS_24const_host_device_scalarIT4_EEPKT2_PKS1_PKS3_SB_lPS3_PiS9_iPS1_21rocsparse_index_base_20rocsparse_fill_mode_20rocsparse_diag_type_b,"axG",@progbits,_ZN9rocsparseL12csrsv_kernelILj1024ELj64ELb1ElifEEvT3_NS_24const_host_device_scalarIT4_EEPKT2_PKS1_PKS3_SB_lPS3_PiS9_iPS1_21rocsparse_index_base_20rocsparse_fill_mode_20rocsparse_diag_type_b,comdat
.Lfunc_end12:
	.size	_ZN9rocsparseL12csrsv_kernelILj1024ELj64ELb1ElifEEvT3_NS_24const_host_device_scalarIT4_EEPKT2_PKS1_PKS3_SB_lPS3_PiS9_iPS1_21rocsparse_index_base_20rocsparse_fill_mode_20rocsparse_diag_type_b, .Lfunc_end12-_ZN9rocsparseL12csrsv_kernelILj1024ELj64ELb1ElifEEvT3_NS_24const_host_device_scalarIT4_EEPKT2_PKS1_PKS3_SB_lPS3_PiS9_iPS1_21rocsparse_index_base_20rocsparse_fill_mode_20rocsparse_diag_type_b
                                        ; -- End function
	.section	.AMDGPU.csdata,"",@progbits
; Kernel info:
; codeLenInByte = 1424
; NumSgprs: 43
; NumVgprs: 14
; NumAgprs: 0
; TotalNumVgprs: 14
; ScratchSize: 0
; MemoryBound: 0
; FloatMode: 240
; IeeeMode: 1
; LDSByteSize: 64 bytes/workgroup (compile time only)
; SGPRBlocks: 5
; VGPRBlocks: 1
; NumSGPRsForWavesPerEU: 43
; NumVGPRsForWavesPerEU: 14
; AccumOffset: 16
; Occupancy: 8
; WaveLimiterHint : 1
; COMPUTE_PGM_RSRC2:SCRATCH_EN: 0
; COMPUTE_PGM_RSRC2:USER_SGPR: 6
; COMPUTE_PGM_RSRC2:TRAP_HANDLER: 0
; COMPUTE_PGM_RSRC2:TGID_X_EN: 1
; COMPUTE_PGM_RSRC2:TGID_Y_EN: 0
; COMPUTE_PGM_RSRC2:TGID_Z_EN: 0
; COMPUTE_PGM_RSRC2:TIDIG_COMP_CNT: 0
; COMPUTE_PGM_RSRC3_GFX90A:ACCUM_OFFSET: 3
; COMPUTE_PGM_RSRC3_GFX90A:TG_SPLIT: 0
	.section	.text._ZN9rocsparseL12csrsv_kernelILj1024ELj32ELb0ElifEEvT3_NS_24const_host_device_scalarIT4_EEPKT2_PKS1_PKS3_SB_lPS3_PiS9_iPS1_21rocsparse_index_base_20rocsparse_fill_mode_20rocsparse_diag_type_b,"axG",@progbits,_ZN9rocsparseL12csrsv_kernelILj1024ELj32ELb0ElifEEvT3_NS_24const_host_device_scalarIT4_EEPKT2_PKS1_PKS3_SB_lPS3_PiS9_iPS1_21rocsparse_index_base_20rocsparse_fill_mode_20rocsparse_diag_type_b,comdat
	.globl	_ZN9rocsparseL12csrsv_kernelILj1024ELj32ELb0ElifEEvT3_NS_24const_host_device_scalarIT4_EEPKT2_PKS1_PKS3_SB_lPS3_PiS9_iPS1_21rocsparse_index_base_20rocsparse_fill_mode_20rocsparse_diag_type_b ; -- Begin function _ZN9rocsparseL12csrsv_kernelILj1024ELj32ELb0ElifEEvT3_NS_24const_host_device_scalarIT4_EEPKT2_PKS1_PKS3_SB_lPS3_PiS9_iPS1_21rocsparse_index_base_20rocsparse_fill_mode_20rocsparse_diag_type_b
	.p2align	8
	.type	_ZN9rocsparseL12csrsv_kernelILj1024ELj32ELb0ElifEEvT3_NS_24const_host_device_scalarIT4_EEPKT2_PKS1_PKS3_SB_lPS3_PiS9_iPS1_21rocsparse_index_base_20rocsparse_fill_mode_20rocsparse_diag_type_b,@function
_ZN9rocsparseL12csrsv_kernelILj1024ELj32ELb0ElifEEvT3_NS_24const_host_device_scalarIT4_EEPKT2_PKS1_PKS3_SB_lPS3_PiS9_iPS1_21rocsparse_index_base_20rocsparse_fill_mode_20rocsparse_diag_type_b: ; @_ZN9rocsparseL12csrsv_kernelILj1024ELj32ELb0ElifEEvT3_NS_24const_host_device_scalarIT4_EEPKT2_PKS1_PKS3_SB_lPS3_PiS9_iPS1_21rocsparse_index_base_20rocsparse_fill_mode_20rocsparse_diag_type_b
; %bb.0:
	s_load_dwordx4 s[8:11], s[4:5], 0x60
	s_load_dwordx2 s[16:17], s[4:5], 0x8
	s_waitcnt lgkmcnt(0)
	s_bitcmp1_b32 s11, 0
	s_cselect_b64 s[0:1], -1, 0
	s_and_b64 vcc, exec, s[0:1]
	s_cbranch_vccnz .LBB13_2
; %bb.1:
	s_load_dword s16, s[16:17], 0x0
.LBB13_2:
	s_nop 0
	s_load_dword s1, s[4:5], 0x0
	v_lshrrev_b32_e32 v1, 5, v0
	v_readfirstlane_b32 s11, v1
	s_lshl_b32 s0, s6, 5
	s_add_i32 s0, s11, s0
	s_waitcnt lgkmcnt(0)
	s_cmp_ge_i32 s0, s1
	s_cbranch_scc1 .LBB13_46
; %bb.3:
	s_load_dword s1, s[4:5], 0x50
	s_load_dwordx2 s[2:3], s[4:5], 0x48
	v_and_b32_e32 v6, 31, v0
	v_cmp_eq_u32_e32 vcc, 0, v6
	v_mov_b32_e32 v8, 0
	s_waitcnt lgkmcnt(0)
	s_add_i32 s0, s0, s1
	s_ashr_i32 s1, s0, 31
	s_lshl_b64 s[0:1], s[0:1], 2
	s_add_u32 s0, s2, s0
	s_addc_u32 s1, s3, s1
	s_load_dword s6, s[0:1], 0x0
	s_load_dwordx2 s[2:3], s[4:5], 0x10
	s_load_dwordx4 s[12:15], s[4:5], 0x38
	s_waitcnt lgkmcnt(0)
	s_ashr_i32 s7, s6, 31
	s_lshl_b64 s[0:1], s[6:7], 3
	s_add_u32 s0, s2, s0
	s_addc_u32 s1, s3, s1
	s_load_dwordx4 s[0:3], s[0:1], 0x0
	s_and_saveexec_b64 s[18:19], vcc
	s_cbranch_execz .LBB13_5
; %bb.4:
	s_load_dwordx4 s[20:23], s[4:5], 0x28
	s_waitcnt lgkmcnt(0)
	s_mul_i32 s17, s6, s23
	s_mul_hi_u32 s23, s6, s22
	s_mul_i32 s24, s7, s22
	s_add_i32 s17, s23, s17
	s_add_i32 s23, s17, s24
	s_mul_i32 s22, s6, s22
	s_lshl_b64 s[22:23], s[22:23], 2
	s_add_u32 s20, s20, s22
	s_addc_u32 s21, s21, s23
	s_load_dword s17, s[20:21], 0x0
	s_waitcnt lgkmcnt(0)
	v_mov_b32_e32 v0, s17
	v_mul_f32_e32 v8, s16, v0
.LBB13_5:
	s_or_b64 exec, exec, s[18:19]
	s_waitcnt lgkmcnt(0)
	s_sub_u32 s20, s2, s8
	v_subrev_co_u32_e32 v0, vcc, s8, v6
	s_subb_u32 s21, s3, 0
	v_subb_co_u32_e64 v1, s[2:3], 0, 0, vcc
	v_mov_b32_e32 v2, s1
	v_add_co_u32_e32 v0, vcc, s0, v0
	v_addc_co_u32_e32 v1, vcc, v2, v1, vcc
	v_cmp_gt_i64_e32 vcc, s[20:21], v[0:1]
	s_and_saveexec_b64 s[22:23], vcc
	s_cbranch_execz .LBB13_43
; %bb.6:
	s_load_dwordx2 s[24:25], s[4:5], 0x58
	s_load_dwordx4 s[16:19], s[4:5], 0x18
	s_cmp_eq_u32 s10, 0
	s_cselect_b64 s[26:27], -1, 0
	v_cndmask_b32_e64 v2, 0, 1, s[26:27]
	s_add_i32 s33, s6, s8
	s_lshl_b32 s38, s11, 2
	s_mov_b64 s[28:29], 0
	s_waitcnt lgkmcnt(0)
	v_mov_b32_e32 v7, s17
	v_mov_b32_e32 v9, s19
	;; [unrolled: 1-line block ×3, first 2 shown]
	v_cmp_ne_u32_e64 s[0:1], 1, v2
	s_branch .LBB13_8
.LBB13_7:                               ;   in Loop: Header=BB13_8 Depth=1
	s_or_b64 exec, exec, s[30:31]
	s_and_b64 s[2:3], exec, s[2:3]
	s_or_b64 s[28:29], s[2:3], s[28:29]
	v_mov_b32_e32 v8, v3
	s_andn2_b64 exec, exec, s[28:29]
	s_cbranch_execz .LBB13_42
.LBB13_8:                               ; =>This Loop Header: Depth=1
                                        ;     Child Loop BB13_33 Depth 2
	v_lshlrev_b64 v[2:3], 2, v[0:1]
	v_add_co_u32_e32 v4, vcc, s16, v2
	v_addc_co_u32_e32 v5, vcc, v7, v3, vcc
	global_load_dword v4, v[4:5], off glc slc
	v_add_co_u32_e32 v2, vcc, s18, v2
	v_addc_co_u32_e32 v3, vcc, v9, v3, vcc
	global_load_dword v11, v[2:3], off glc slc
	s_waitcnt vmcnt(1)
	v_subrev_u32_e32 v2, s8, v4
	v_cmp_eq_u32_e32 vcc, s6, v2
	s_and_b64 s[4:5], s[26:27], vcc
	s_waitcnt vmcnt(0)
	v_cmp_eq_f32_e64 s[2:3], 0, v11
	s_and_b64 s[2:3], s[2:3], s[4:5]
	s_and_saveexec_b64 s[4:5], s[2:3]
	s_cbranch_execz .LBB13_12
; %bb.9:                                ;   in Loop: Header=BB13_8 Depth=1
	v_mbcnt_lo_u32_b32 v3, exec_lo, 0
	v_mbcnt_hi_u32_b32 v3, exec_hi, v3
	v_cmp_eq_u32_e64 s[2:3], 0, v3
	s_and_saveexec_b64 s[30:31], s[2:3]
	s_cbranch_execz .LBB13_11
; %bb.10:                               ;   in Loop: Header=BB13_8 Depth=1
	v_mov_b32_e32 v3, s33
	global_atomic_smin v10, v3, s[24:25]
.LBB13_11:                              ;   in Loop: Header=BB13_8 Depth=1
	s_or_b64 exec, exec, s[30:31]
	v_mov_b32_e32 v11, 1.0
.LBB13_12:                              ;   in Loop: Header=BB13_8 Depth=1
	s_or_b64 exec, exec, s[4:5]
	v_cmp_ne_u32_e64 s[2:3], s6, v2
	s_cmp_lt_i32 s9, 1
	s_mov_b64 s[30:31], 0
	s_cbranch_scc1 .LBB13_21
; %bb.13:                               ;   in Loop: Header=BB13_8 Depth=1
	s_cmp_eq_u32 s9, 1
	s_cbranch_scc0 .LBB13_22
; %bb.14:                               ;   in Loop: Header=BB13_8 Depth=1
	v_cmp_le_i32_e64 s[4:5], s6, v2
	s_mov_b64 s[34:35], 0
	s_and_saveexec_b64 s[36:37], s[4:5]
	s_cbranch_execz .LBB13_20
; %bb.15:                               ;   in Loop: Header=BB13_8 Depth=1
	s_mov_b64 s[34:35], -1
	s_and_saveexec_b64 s[4:5], vcc
	s_xor_b64 s[4:5], exec, s[4:5]
	s_cbranch_execz .LBB13_19
; %bb.16:                               ;   in Loop: Header=BB13_8 Depth=1
	s_and_b64 vcc, exec, s[0:1]
	s_cbranch_vccnz .LBB13_18
; %bb.17:                               ;   in Loop: Header=BB13_8 Depth=1
	v_div_scale_f32 v3, s[34:35], v11, v11, 1.0
	v_rcp_f32_e32 v4, v3
	v_div_scale_f32 v5, vcc, 1.0, v11, 1.0
	v_fma_f32 v12, -v3, v4, 1.0
	v_fmac_f32_e32 v4, v12, v4
	v_mul_f32_e32 v12, v5, v4
	v_fma_f32 v13, -v3, v12, v5
	v_fmac_f32_e32 v12, v13, v4
	v_fma_f32 v3, -v3, v12, v5
	v_div_fmas_f32 v3, v3, v4, v12
	v_div_fixup_f32 v3, v3, v11, 1.0
	v_mov_b32_e32 v4, s38
	ds_write_b32 v4, v3
.LBB13_18:                              ;   in Loop: Header=BB13_8 Depth=1
	s_xor_b64 s[34:35], exec, -1
.LBB13_19:                              ;   in Loop: Header=BB13_8 Depth=1
	s_or_b64 exec, exec, s[4:5]
	s_and_b64 s[34:35], s[34:35], exec
.LBB13_20:                              ;   in Loop: Header=BB13_8 Depth=1
	s_or_b64 exec, exec, s[36:37]
	s_mov_b32 s17, 4
	v_mov_b32_e32 v3, v8
	s_branch .LBB13_23
.LBB13_21:                              ;   in Loop: Header=BB13_8 Depth=1
	s_mov_b64 s[34:35], 0
                                        ; implicit-def: $sgpr17
                                        ; implicit-def: $vgpr3
	s_cbranch_execnz .LBB13_24
	s_branch .LBB13_26
.LBB13_22:                              ;   in Loop: Header=BB13_8 Depth=1
	s_mov_b64 s[34:35], -1
                                        ; implicit-def: $sgpr17
                                        ; implicit-def: $vgpr3
.LBB13_23:                              ;   in Loop: Header=BB13_8 Depth=1
	s_branch .LBB13_26
.LBB13_24:                              ;   in Loop: Header=BB13_8 Depth=1
	s_cmp_eq_u32 s9, 0
	s_cbranch_scc1 .LBB13_28
; %bb.25:                               ;   in Loop: Header=BB13_8 Depth=1
	s_mov_b64 s[34:35], -1
                                        ; implicit-def: $sgpr17
                                        ; implicit-def: $vgpr3
.LBB13_26:                              ;   in Loop: Header=BB13_8 Depth=1
	v_mov_b32_e32 v4, s17
	s_and_saveexec_b64 s[2:3], s[34:35]
	s_cbranch_execnz .LBB13_31
.LBB13_27:                              ;   in Loop: Header=BB13_8 Depth=1
	s_or_b64 exec, exec, s[2:3]
	s_and_saveexec_b64 s[2:3], s[30:31]
	s_cbranch_execnz .LBB13_35
	s_branch .LBB13_38
.LBB13_28:                              ;   in Loop: Header=BB13_8 Depth=1
	v_cmp_ge_i32_e32 vcc, s6, v2
	s_mov_b64 s[34:35], 0
	s_and_saveexec_b64 s[4:5], vcc
; %bb.29:                               ;   in Loop: Header=BB13_8 Depth=1
	s_mov_b64 s[30:31], exec
	s_and_b64 s[34:35], s[2:3], exec
; %bb.30:                               ;   in Loop: Header=BB13_8 Depth=1
	s_or_b64 exec, exec, s[4:5]
	s_mov_b32 s17, 2
	v_mov_b32_e32 v3, v8
	v_mov_b32_e32 v4, s17
	s_and_saveexec_b64 s[2:3], s[34:35]
	s_cbranch_execz .LBB13_27
.LBB13_31:                              ;   in Loop: Header=BB13_8 Depth=1
	v_ashrrev_i32_e32 v3, 31, v2
	v_lshlrev_b64 v[2:3], 2, v[2:3]
	v_mov_b32_e32 v5, s15
	v_add_co_u32_e32 v4, vcc, s14, v2
	v_addc_co_u32_e32 v5, vcc, v5, v3, vcc
	global_load_dword v12, v[4:5], off glc
	s_waitcnt vmcnt(0)
	v_cmp_eq_u32_e32 vcc, 0, v12
	s_and_saveexec_b64 s[4:5], vcc
	s_cbranch_execz .LBB13_34
; %bb.32:                               ;   in Loop: Header=BB13_8 Depth=1
	s_mov_b64 s[34:35], 0
.LBB13_33:                              ;   Parent Loop BB13_8 Depth=1
                                        ; =>  This Inner Loop Header: Depth=2
	global_load_dword v12, v[4:5], off glc
	s_waitcnt vmcnt(0)
	v_cmp_ne_u32_e32 vcc, 0, v12
	s_or_b64 s[34:35], vcc, s[34:35]
	s_andn2_b64 exec, exec, s[34:35]
	s_cbranch_execnz .LBB13_33
.LBB13_34:                              ;   in Loop: Header=BB13_8 Depth=1
	s_or_b64 exec, exec, s[4:5]
	v_mov_b32_e32 v4, s13
	v_add_co_u32_e32 v2, vcc, s12, v2
	v_addc_co_u32_e32 v3, vcc, v4, v3, vcc
	s_waitcnt lgkmcnt(0)
	buffer_wbinvl1_vol
	global_load_dword v2, v[2:3], off
	v_mov_b32_e32 v4, 0
	s_andn2_b64 s[30:31], s[30:31], exec
	s_waitcnt vmcnt(0)
	v_fma_f32 v3, -v11, v2, v8
	s_or_b64 exec, exec, s[2:3]
	s_and_saveexec_b64 s[2:3], s[30:31]
	s_cbranch_execz .LBB13_38
.LBB13_35:                              ;   in Loop: Header=BB13_8 Depth=1
	s_and_b64 vcc, exec, s[0:1]
	s_cbranch_vccnz .LBB13_37
; %bb.36:                               ;   in Loop: Header=BB13_8 Depth=1
	v_div_scale_f32 v2, s[4:5], v11, v11, 1.0
	v_rcp_f32_e32 v3, v2
	v_div_scale_f32 v4, vcc, 1.0, v11, 1.0
	v_fma_f32 v5, -v2, v3, 1.0
	v_fmac_f32_e32 v3, v5, v3
	v_mul_f32_e32 v5, v4, v3
	v_fma_f32 v12, -v2, v5, v4
	v_fmac_f32_e32 v5, v12, v3
	v_fma_f32 v2, -v2, v5, v4
	v_div_fmas_f32 v2, v2, v3, v5
	v_div_fixup_f32 v2, v2, v11, 1.0
	v_mov_b32_e32 v3, s38
	ds_write_b32 v3, v2
.LBB13_37:                              ;   in Loop: Header=BB13_8 Depth=1
	v_mov_b32_e32 v4, 2
	v_mov_b32_e32 v3, v8
.LBB13_38:                              ;   in Loop: Header=BB13_8 Depth=1
	s_or_b64 exec, exec, s[2:3]
	v_cmp_gt_i32_e32 vcc, 4, v4
	s_mov_b64 s[2:3], -1
	s_mov_b64 s[4:5], -1
	s_and_saveexec_b64 s[30:31], vcc
; %bb.39:                               ;   in Loop: Header=BB13_8 Depth=1
	v_cmp_eq_u32_e32 vcc, 0, v4
	s_orn2_b64 s[4:5], vcc, exec
; %bb.40:                               ;   in Loop: Header=BB13_8 Depth=1
	s_or_b64 exec, exec, s[30:31]
	s_and_saveexec_b64 s[30:31], s[4:5]
	s_cbranch_execz .LBB13_7
; %bb.41:                               ;   in Loop: Header=BB13_8 Depth=1
	v_add_co_u32_e32 v0, vcc, 32, v0
	v_addc_co_u32_e32 v1, vcc, 0, v1, vcc
	v_cmp_le_i64_e32 vcc, s[20:21], v[0:1]
	s_orn2_b64 s[2:3], vcc, exec
	s_branch .LBB13_7
.LBB13_42:
	s_or_b64 exec, exec, s[28:29]
	v_mov_b32_e32 v8, v3
.LBB13_43:
	s_or_b64 exec, exec, s[22:23]
	s_nop 0
	v_mov_b32_dpp v0, v8 row_shr:1 row_mask:0xf bank_mask:0xf
	v_add_f32_e32 v0, v8, v0
	s_cmp_lg_u32 s10, 0
	s_nop 0
	v_mov_b32_dpp v1, v0 row_shr:2 row_mask:0xf bank_mask:0xf
	v_add_f32_e32 v0, v0, v1
	s_nop 1
	v_mov_b32_dpp v1, v0 row_shr:4 row_mask:0xf bank_mask:0xe
	v_add_f32_e32 v0, v0, v1
	;; [unrolled: 3-line block ×3, first 2 shown]
	s_nop 1
	v_mov_b32_dpp v1, v0 row_bcast:15 row_mask:0xa bank_mask:0xf
	v_add_f32_e32 v0, v0, v1
	s_cbranch_scc0 .LBB13_47
; %bb.44:
	v_cmp_eq_u32_e32 vcc, 31, v6
	s_and_saveexec_b64 s[0:1], vcc
	s_cbranch_execz .LBB13_46
.LBB13_45:
	s_lshl_b64 s[0:1], s[6:7], 2
	s_add_u32 s2, s12, s0
	s_addc_u32 s3, s13, s1
	v_mov_b32_e32 v1, 0
	s_add_u32 s0, s14, s0
	s_addc_u32 s1, s15, s1
	global_store_dword v1, v0, s[2:3] glc slc
	v_mov_b32_e32 v0, 1
	s_waitcnt vmcnt(0)
	global_store_dword v1, v0, s[0:1]
.LBB13_46:
	s_endpgm
.LBB13_47:
	s_lshl_b32 s0, s11, 2
	v_mov_b32_e32 v1, s0
	s_waitcnt lgkmcnt(0)
	ds_read_b32 v1, v1
	s_waitcnt lgkmcnt(0)
	v_mul_f32_e32 v0, v0, v1
	v_cmp_eq_u32_e32 vcc, 31, v6
	s_and_saveexec_b64 s[0:1], vcc
	s_cbranch_execnz .LBB13_45
	s_branch .LBB13_46
	.section	.rodata,"a",@progbits
	.p2align	6, 0x0
	.amdhsa_kernel _ZN9rocsparseL12csrsv_kernelILj1024ELj32ELb0ElifEEvT3_NS_24const_host_device_scalarIT4_EEPKT2_PKS1_PKS3_SB_lPS3_PiS9_iPS1_21rocsparse_index_base_20rocsparse_fill_mode_20rocsparse_diag_type_b
		.amdhsa_group_segment_fixed_size 128
		.amdhsa_private_segment_fixed_size 0
		.amdhsa_kernarg_size 112
		.amdhsa_user_sgpr_count 6
		.amdhsa_user_sgpr_private_segment_buffer 1
		.amdhsa_user_sgpr_dispatch_ptr 0
		.amdhsa_user_sgpr_queue_ptr 0
		.amdhsa_user_sgpr_kernarg_segment_ptr 1
		.amdhsa_user_sgpr_dispatch_id 0
		.amdhsa_user_sgpr_flat_scratch_init 0
		.amdhsa_user_sgpr_kernarg_preload_length 0
		.amdhsa_user_sgpr_kernarg_preload_offset 0
		.amdhsa_user_sgpr_private_segment_size 0
		.amdhsa_uses_dynamic_stack 0
		.amdhsa_system_sgpr_private_segment_wavefront_offset 0
		.amdhsa_system_sgpr_workgroup_id_x 1
		.amdhsa_system_sgpr_workgroup_id_y 0
		.amdhsa_system_sgpr_workgroup_id_z 0
		.amdhsa_system_sgpr_workgroup_info 0
		.amdhsa_system_vgpr_workitem_id 0
		.amdhsa_next_free_vgpr 14
		.amdhsa_next_free_sgpr 39
		.amdhsa_accum_offset 16
		.amdhsa_reserve_vcc 1
		.amdhsa_reserve_flat_scratch 0
		.amdhsa_float_round_mode_32 0
		.amdhsa_float_round_mode_16_64 0
		.amdhsa_float_denorm_mode_32 3
		.amdhsa_float_denorm_mode_16_64 3
		.amdhsa_dx10_clamp 1
		.amdhsa_ieee_mode 1
		.amdhsa_fp16_overflow 0
		.amdhsa_tg_split 0
		.amdhsa_exception_fp_ieee_invalid_op 0
		.amdhsa_exception_fp_denorm_src 0
		.amdhsa_exception_fp_ieee_div_zero 0
		.amdhsa_exception_fp_ieee_overflow 0
		.amdhsa_exception_fp_ieee_underflow 0
		.amdhsa_exception_fp_ieee_inexact 0
		.amdhsa_exception_int_div_zero 0
	.end_amdhsa_kernel
	.section	.text._ZN9rocsparseL12csrsv_kernelILj1024ELj32ELb0ElifEEvT3_NS_24const_host_device_scalarIT4_EEPKT2_PKS1_PKS3_SB_lPS3_PiS9_iPS1_21rocsparse_index_base_20rocsparse_fill_mode_20rocsparse_diag_type_b,"axG",@progbits,_ZN9rocsparseL12csrsv_kernelILj1024ELj32ELb0ElifEEvT3_NS_24const_host_device_scalarIT4_EEPKT2_PKS1_PKS3_SB_lPS3_PiS9_iPS1_21rocsparse_index_base_20rocsparse_fill_mode_20rocsparse_diag_type_b,comdat
.Lfunc_end13:
	.size	_ZN9rocsparseL12csrsv_kernelILj1024ELj32ELb0ElifEEvT3_NS_24const_host_device_scalarIT4_EEPKT2_PKS1_PKS3_SB_lPS3_PiS9_iPS1_21rocsparse_index_base_20rocsparse_fill_mode_20rocsparse_diag_type_b, .Lfunc_end13-_ZN9rocsparseL12csrsv_kernelILj1024ELj32ELb0ElifEEvT3_NS_24const_host_device_scalarIT4_EEPKT2_PKS1_PKS3_SB_lPS3_PiS9_iPS1_21rocsparse_index_base_20rocsparse_fill_mode_20rocsparse_diag_type_b
                                        ; -- End function
	.section	.AMDGPU.csdata,"",@progbits
; Kernel info:
; codeLenInByte = 1352
; NumSgprs: 43
; NumVgprs: 14
; NumAgprs: 0
; TotalNumVgprs: 14
; ScratchSize: 0
; MemoryBound: 0
; FloatMode: 240
; IeeeMode: 1
; LDSByteSize: 128 bytes/workgroup (compile time only)
; SGPRBlocks: 5
; VGPRBlocks: 1
; NumSGPRsForWavesPerEU: 43
; NumVGPRsForWavesPerEU: 14
; AccumOffset: 16
; Occupancy: 8
; WaveLimiterHint : 1
; COMPUTE_PGM_RSRC2:SCRATCH_EN: 0
; COMPUTE_PGM_RSRC2:USER_SGPR: 6
; COMPUTE_PGM_RSRC2:TRAP_HANDLER: 0
; COMPUTE_PGM_RSRC2:TGID_X_EN: 1
; COMPUTE_PGM_RSRC2:TGID_Y_EN: 0
; COMPUTE_PGM_RSRC2:TGID_Z_EN: 0
; COMPUTE_PGM_RSRC2:TIDIG_COMP_CNT: 0
; COMPUTE_PGM_RSRC3_GFX90A:ACCUM_OFFSET: 3
; COMPUTE_PGM_RSRC3_GFX90A:TG_SPLIT: 0
	.section	.text._ZN9rocsparseL12csrsv_kernelILj1024ELj64ELb0ElifEEvT3_NS_24const_host_device_scalarIT4_EEPKT2_PKS1_PKS3_SB_lPS3_PiS9_iPS1_21rocsparse_index_base_20rocsparse_fill_mode_20rocsparse_diag_type_b,"axG",@progbits,_ZN9rocsparseL12csrsv_kernelILj1024ELj64ELb0ElifEEvT3_NS_24const_host_device_scalarIT4_EEPKT2_PKS1_PKS3_SB_lPS3_PiS9_iPS1_21rocsparse_index_base_20rocsparse_fill_mode_20rocsparse_diag_type_b,comdat
	.globl	_ZN9rocsparseL12csrsv_kernelILj1024ELj64ELb0ElifEEvT3_NS_24const_host_device_scalarIT4_EEPKT2_PKS1_PKS3_SB_lPS3_PiS9_iPS1_21rocsparse_index_base_20rocsparse_fill_mode_20rocsparse_diag_type_b ; -- Begin function _ZN9rocsparseL12csrsv_kernelILj1024ELj64ELb0ElifEEvT3_NS_24const_host_device_scalarIT4_EEPKT2_PKS1_PKS3_SB_lPS3_PiS9_iPS1_21rocsparse_index_base_20rocsparse_fill_mode_20rocsparse_diag_type_b
	.p2align	8
	.type	_ZN9rocsparseL12csrsv_kernelILj1024ELj64ELb0ElifEEvT3_NS_24const_host_device_scalarIT4_EEPKT2_PKS1_PKS3_SB_lPS3_PiS9_iPS1_21rocsparse_index_base_20rocsparse_fill_mode_20rocsparse_diag_type_b,@function
_ZN9rocsparseL12csrsv_kernelILj1024ELj64ELb0ElifEEvT3_NS_24const_host_device_scalarIT4_EEPKT2_PKS1_PKS3_SB_lPS3_PiS9_iPS1_21rocsparse_index_base_20rocsparse_fill_mode_20rocsparse_diag_type_b: ; @_ZN9rocsparseL12csrsv_kernelILj1024ELj64ELb0ElifEEvT3_NS_24const_host_device_scalarIT4_EEPKT2_PKS1_PKS3_SB_lPS3_PiS9_iPS1_21rocsparse_index_base_20rocsparse_fill_mode_20rocsparse_diag_type_b
; %bb.0:
	s_load_dwordx4 s[8:11], s[4:5], 0x60
	s_load_dwordx2 s[16:17], s[4:5], 0x8
	s_waitcnt lgkmcnt(0)
	s_bitcmp1_b32 s11, 0
	s_cselect_b64 s[0:1], -1, 0
	s_and_b64 vcc, exec, s[0:1]
	s_cbranch_vccnz .LBB14_2
; %bb.1:
	s_load_dword s16, s[16:17], 0x0
.LBB14_2:
	s_nop 0
	s_load_dword s1, s[4:5], 0x0
	v_lshrrev_b32_e32 v1, 6, v0
	v_readfirstlane_b32 s11, v1
	s_lshl_b32 s0, s6, 4
	s_add_i32 s0, s11, s0
	s_waitcnt lgkmcnt(0)
	s_cmp_ge_i32 s0, s1
	s_cbranch_scc1 .LBB14_46
; %bb.3:
	s_load_dword s1, s[4:5], 0x50
	s_load_dwordx2 s[2:3], s[4:5], 0x48
	v_and_b32_e32 v6, 63, v0
	v_cmp_eq_u32_e32 vcc, 0, v6
	v_mov_b32_e32 v8, 0
	s_waitcnt lgkmcnt(0)
	s_add_i32 s0, s0, s1
	s_ashr_i32 s1, s0, 31
	s_lshl_b64 s[0:1], s[0:1], 2
	s_add_u32 s0, s2, s0
	s_addc_u32 s1, s3, s1
	s_load_dword s6, s[0:1], 0x0
	s_load_dwordx2 s[2:3], s[4:5], 0x10
	s_load_dwordx4 s[12:15], s[4:5], 0x38
	s_waitcnt lgkmcnt(0)
	s_ashr_i32 s7, s6, 31
	s_lshl_b64 s[0:1], s[6:7], 3
	s_add_u32 s0, s2, s0
	s_addc_u32 s1, s3, s1
	s_load_dwordx4 s[0:3], s[0:1], 0x0
	s_and_saveexec_b64 s[18:19], vcc
	s_cbranch_execz .LBB14_5
; %bb.4:
	s_load_dwordx4 s[20:23], s[4:5], 0x28
	s_waitcnt lgkmcnt(0)
	s_mul_i32 s17, s6, s23
	s_mul_hi_u32 s23, s6, s22
	s_mul_i32 s24, s7, s22
	s_add_i32 s17, s23, s17
	s_add_i32 s23, s17, s24
	s_mul_i32 s22, s6, s22
	s_lshl_b64 s[22:23], s[22:23], 2
	s_add_u32 s20, s20, s22
	s_addc_u32 s21, s21, s23
	s_load_dword s17, s[20:21], 0x0
	s_waitcnt lgkmcnt(0)
	v_mov_b32_e32 v0, s17
	v_mul_f32_e32 v8, s16, v0
.LBB14_5:
	s_or_b64 exec, exec, s[18:19]
	s_waitcnt lgkmcnt(0)
	s_sub_u32 s20, s2, s8
	v_subrev_co_u32_e32 v0, vcc, s8, v6
	s_subb_u32 s21, s3, 0
	v_subb_co_u32_e64 v1, s[2:3], 0, 0, vcc
	v_mov_b32_e32 v2, s1
	v_add_co_u32_e32 v0, vcc, s0, v0
	v_addc_co_u32_e32 v1, vcc, v2, v1, vcc
	v_cmp_gt_i64_e32 vcc, s[20:21], v[0:1]
	s_and_saveexec_b64 s[22:23], vcc
	s_cbranch_execz .LBB14_43
; %bb.6:
	s_load_dwordx2 s[24:25], s[4:5], 0x58
	s_load_dwordx4 s[16:19], s[4:5], 0x18
	s_cmp_eq_u32 s10, 0
	s_cselect_b64 s[26:27], -1, 0
	v_cndmask_b32_e64 v2, 0, 1, s[26:27]
	s_add_i32 s33, s6, s8
	s_lshl_b32 s38, s11, 2
	s_mov_b64 s[28:29], 0
	s_waitcnt lgkmcnt(0)
	v_mov_b32_e32 v7, s17
	v_mov_b32_e32 v9, s19
	v_mov_b32_e32 v10, 0
	v_cmp_ne_u32_e64 s[0:1], 1, v2
	s_branch .LBB14_8
.LBB14_7:                               ;   in Loop: Header=BB14_8 Depth=1
	s_or_b64 exec, exec, s[30:31]
	s_and_b64 s[2:3], exec, s[2:3]
	s_or_b64 s[28:29], s[2:3], s[28:29]
	v_mov_b32_e32 v8, v3
	s_andn2_b64 exec, exec, s[28:29]
	s_cbranch_execz .LBB14_42
.LBB14_8:                               ; =>This Loop Header: Depth=1
                                        ;     Child Loop BB14_33 Depth 2
	v_lshlrev_b64 v[2:3], 2, v[0:1]
	v_add_co_u32_e32 v4, vcc, s16, v2
	v_addc_co_u32_e32 v5, vcc, v7, v3, vcc
	global_load_dword v4, v[4:5], off glc slc
	v_add_co_u32_e32 v2, vcc, s18, v2
	v_addc_co_u32_e32 v3, vcc, v9, v3, vcc
	global_load_dword v11, v[2:3], off glc slc
	s_waitcnt vmcnt(1)
	v_subrev_u32_e32 v2, s8, v4
	v_cmp_eq_u32_e32 vcc, s6, v2
	s_and_b64 s[4:5], s[26:27], vcc
	s_waitcnt vmcnt(0)
	v_cmp_eq_f32_e64 s[2:3], 0, v11
	s_and_b64 s[2:3], s[2:3], s[4:5]
	s_and_saveexec_b64 s[4:5], s[2:3]
	s_cbranch_execz .LBB14_12
; %bb.9:                                ;   in Loop: Header=BB14_8 Depth=1
	v_mbcnt_lo_u32_b32 v3, exec_lo, 0
	v_mbcnt_hi_u32_b32 v3, exec_hi, v3
	v_cmp_eq_u32_e64 s[2:3], 0, v3
	s_and_saveexec_b64 s[30:31], s[2:3]
	s_cbranch_execz .LBB14_11
; %bb.10:                               ;   in Loop: Header=BB14_8 Depth=1
	v_mov_b32_e32 v3, s33
	global_atomic_smin v10, v3, s[24:25]
.LBB14_11:                              ;   in Loop: Header=BB14_8 Depth=1
	s_or_b64 exec, exec, s[30:31]
	v_mov_b32_e32 v11, 1.0
.LBB14_12:                              ;   in Loop: Header=BB14_8 Depth=1
	s_or_b64 exec, exec, s[4:5]
	v_cmp_ne_u32_e64 s[2:3], s6, v2
	s_cmp_lt_i32 s9, 1
	s_mov_b64 s[30:31], 0
	s_cbranch_scc1 .LBB14_21
; %bb.13:                               ;   in Loop: Header=BB14_8 Depth=1
	s_cmp_eq_u32 s9, 1
	s_cbranch_scc0 .LBB14_22
; %bb.14:                               ;   in Loop: Header=BB14_8 Depth=1
	v_cmp_le_i32_e64 s[4:5], s6, v2
	s_mov_b64 s[34:35], 0
	s_and_saveexec_b64 s[36:37], s[4:5]
	s_cbranch_execz .LBB14_20
; %bb.15:                               ;   in Loop: Header=BB14_8 Depth=1
	s_mov_b64 s[34:35], -1
	s_and_saveexec_b64 s[4:5], vcc
	s_xor_b64 s[4:5], exec, s[4:5]
	s_cbranch_execz .LBB14_19
; %bb.16:                               ;   in Loop: Header=BB14_8 Depth=1
	s_and_b64 vcc, exec, s[0:1]
	s_cbranch_vccnz .LBB14_18
; %bb.17:                               ;   in Loop: Header=BB14_8 Depth=1
	v_div_scale_f32 v3, s[34:35], v11, v11, 1.0
	v_rcp_f32_e32 v4, v3
	v_div_scale_f32 v5, vcc, 1.0, v11, 1.0
	v_fma_f32 v12, -v3, v4, 1.0
	v_fmac_f32_e32 v4, v12, v4
	v_mul_f32_e32 v12, v5, v4
	v_fma_f32 v13, -v3, v12, v5
	v_fmac_f32_e32 v12, v13, v4
	v_fma_f32 v3, -v3, v12, v5
	v_div_fmas_f32 v3, v3, v4, v12
	v_div_fixup_f32 v3, v3, v11, 1.0
	v_mov_b32_e32 v4, s38
	ds_write_b32 v4, v3
.LBB14_18:                              ;   in Loop: Header=BB14_8 Depth=1
	s_xor_b64 s[34:35], exec, -1
.LBB14_19:                              ;   in Loop: Header=BB14_8 Depth=1
	s_or_b64 exec, exec, s[4:5]
	s_and_b64 s[34:35], s[34:35], exec
.LBB14_20:                              ;   in Loop: Header=BB14_8 Depth=1
	s_or_b64 exec, exec, s[36:37]
	s_mov_b32 s17, 4
	v_mov_b32_e32 v3, v8
	s_branch .LBB14_23
.LBB14_21:                              ;   in Loop: Header=BB14_8 Depth=1
	s_mov_b64 s[34:35], 0
                                        ; implicit-def: $sgpr17
                                        ; implicit-def: $vgpr3
	s_cbranch_execnz .LBB14_24
	s_branch .LBB14_26
.LBB14_22:                              ;   in Loop: Header=BB14_8 Depth=1
	s_mov_b64 s[34:35], -1
                                        ; implicit-def: $sgpr17
                                        ; implicit-def: $vgpr3
.LBB14_23:                              ;   in Loop: Header=BB14_8 Depth=1
	s_branch .LBB14_26
.LBB14_24:                              ;   in Loop: Header=BB14_8 Depth=1
	s_cmp_eq_u32 s9, 0
	s_cbranch_scc1 .LBB14_28
; %bb.25:                               ;   in Loop: Header=BB14_8 Depth=1
	s_mov_b64 s[34:35], -1
                                        ; implicit-def: $sgpr17
                                        ; implicit-def: $vgpr3
.LBB14_26:                              ;   in Loop: Header=BB14_8 Depth=1
	v_mov_b32_e32 v4, s17
	s_and_saveexec_b64 s[2:3], s[34:35]
	s_cbranch_execnz .LBB14_31
.LBB14_27:                              ;   in Loop: Header=BB14_8 Depth=1
	s_or_b64 exec, exec, s[2:3]
	s_and_saveexec_b64 s[2:3], s[30:31]
	s_cbranch_execnz .LBB14_35
	s_branch .LBB14_38
.LBB14_28:                              ;   in Loop: Header=BB14_8 Depth=1
	v_cmp_ge_i32_e32 vcc, s6, v2
	s_mov_b64 s[34:35], 0
	s_and_saveexec_b64 s[4:5], vcc
; %bb.29:                               ;   in Loop: Header=BB14_8 Depth=1
	s_mov_b64 s[30:31], exec
	s_and_b64 s[34:35], s[2:3], exec
; %bb.30:                               ;   in Loop: Header=BB14_8 Depth=1
	s_or_b64 exec, exec, s[4:5]
	s_mov_b32 s17, 2
	v_mov_b32_e32 v3, v8
	v_mov_b32_e32 v4, s17
	s_and_saveexec_b64 s[2:3], s[34:35]
	s_cbranch_execz .LBB14_27
.LBB14_31:                              ;   in Loop: Header=BB14_8 Depth=1
	v_ashrrev_i32_e32 v3, 31, v2
	v_lshlrev_b64 v[2:3], 2, v[2:3]
	v_mov_b32_e32 v5, s15
	v_add_co_u32_e32 v4, vcc, s14, v2
	v_addc_co_u32_e32 v5, vcc, v5, v3, vcc
	global_load_dword v12, v[4:5], off glc
	s_waitcnt vmcnt(0)
	v_cmp_eq_u32_e32 vcc, 0, v12
	s_and_saveexec_b64 s[4:5], vcc
	s_cbranch_execz .LBB14_34
; %bb.32:                               ;   in Loop: Header=BB14_8 Depth=1
	s_mov_b64 s[34:35], 0
.LBB14_33:                              ;   Parent Loop BB14_8 Depth=1
                                        ; =>  This Inner Loop Header: Depth=2
	global_load_dword v12, v[4:5], off glc
	s_waitcnt vmcnt(0)
	v_cmp_ne_u32_e32 vcc, 0, v12
	s_or_b64 s[34:35], vcc, s[34:35]
	s_andn2_b64 exec, exec, s[34:35]
	s_cbranch_execnz .LBB14_33
.LBB14_34:                              ;   in Loop: Header=BB14_8 Depth=1
	s_or_b64 exec, exec, s[4:5]
	v_mov_b32_e32 v4, s13
	v_add_co_u32_e32 v2, vcc, s12, v2
	v_addc_co_u32_e32 v3, vcc, v4, v3, vcc
	s_waitcnt lgkmcnt(0)
	buffer_wbinvl1_vol
	global_load_dword v2, v[2:3], off
	v_mov_b32_e32 v4, 0
	s_andn2_b64 s[30:31], s[30:31], exec
	s_waitcnt vmcnt(0)
	v_fma_f32 v3, -v11, v2, v8
	s_or_b64 exec, exec, s[2:3]
	s_and_saveexec_b64 s[2:3], s[30:31]
	s_cbranch_execz .LBB14_38
.LBB14_35:                              ;   in Loop: Header=BB14_8 Depth=1
	s_and_b64 vcc, exec, s[0:1]
	s_cbranch_vccnz .LBB14_37
; %bb.36:                               ;   in Loop: Header=BB14_8 Depth=1
	v_div_scale_f32 v2, s[4:5], v11, v11, 1.0
	v_rcp_f32_e32 v3, v2
	v_div_scale_f32 v4, vcc, 1.0, v11, 1.0
	v_fma_f32 v5, -v2, v3, 1.0
	v_fmac_f32_e32 v3, v5, v3
	v_mul_f32_e32 v5, v4, v3
	v_fma_f32 v12, -v2, v5, v4
	v_fmac_f32_e32 v5, v12, v3
	v_fma_f32 v2, -v2, v5, v4
	v_div_fmas_f32 v2, v2, v3, v5
	v_div_fixup_f32 v2, v2, v11, 1.0
	v_mov_b32_e32 v3, s38
	ds_write_b32 v3, v2
.LBB14_37:                              ;   in Loop: Header=BB14_8 Depth=1
	v_mov_b32_e32 v4, 2
	v_mov_b32_e32 v3, v8
.LBB14_38:                              ;   in Loop: Header=BB14_8 Depth=1
	s_or_b64 exec, exec, s[2:3]
	v_cmp_gt_i32_e32 vcc, 4, v4
	s_mov_b64 s[2:3], -1
	s_mov_b64 s[4:5], -1
	s_and_saveexec_b64 s[30:31], vcc
; %bb.39:                               ;   in Loop: Header=BB14_8 Depth=1
	v_cmp_eq_u32_e32 vcc, 0, v4
	s_orn2_b64 s[4:5], vcc, exec
; %bb.40:                               ;   in Loop: Header=BB14_8 Depth=1
	s_or_b64 exec, exec, s[30:31]
	s_and_saveexec_b64 s[30:31], s[4:5]
	s_cbranch_execz .LBB14_7
; %bb.41:                               ;   in Loop: Header=BB14_8 Depth=1
	v_add_co_u32_e32 v0, vcc, 64, v0
	v_addc_co_u32_e32 v1, vcc, 0, v1, vcc
	v_cmp_le_i64_e32 vcc, s[20:21], v[0:1]
	s_orn2_b64 s[2:3], vcc, exec
	s_branch .LBB14_7
.LBB14_42:
	s_or_b64 exec, exec, s[28:29]
	v_mov_b32_e32 v8, v3
.LBB14_43:
	s_or_b64 exec, exec, s[22:23]
	s_nop 0
	v_mov_b32_dpp v0, v8 row_shr:1 row_mask:0xf bank_mask:0xf
	v_add_f32_e32 v0, v8, v0
	s_cmp_lg_u32 s10, 0
	s_nop 0
	v_mov_b32_dpp v1, v0 row_shr:2 row_mask:0xf bank_mask:0xf
	v_add_f32_e32 v0, v0, v1
	s_nop 1
	v_mov_b32_dpp v1, v0 row_shr:4 row_mask:0xf bank_mask:0xe
	v_add_f32_e32 v0, v0, v1
	s_nop 1
	v_mov_b32_dpp v1, v0 row_shr:8 row_mask:0xf bank_mask:0xc
	v_add_f32_e32 v0, v0, v1
	s_nop 1
	v_mov_b32_dpp v1, v0 row_bcast:15 row_mask:0xa bank_mask:0xf
	v_add_f32_e32 v0, v0, v1
	s_nop 1
	v_mov_b32_dpp v1, v0 row_bcast:31 row_mask:0xc bank_mask:0xf
	v_add_f32_e32 v0, v0, v1
	s_cbranch_scc0 .LBB14_47
; %bb.44:
	v_cmp_eq_u32_e32 vcc, 63, v6
	s_and_saveexec_b64 s[0:1], vcc
	s_cbranch_execz .LBB14_46
.LBB14_45:
	s_lshl_b64 s[0:1], s[6:7], 2
	s_add_u32 s2, s12, s0
	s_addc_u32 s3, s13, s1
	v_mov_b32_e32 v1, 0
	s_add_u32 s0, s14, s0
	s_addc_u32 s1, s15, s1
	global_store_dword v1, v0, s[2:3] glc slc
	v_mov_b32_e32 v0, 1
	s_waitcnt vmcnt(0)
	global_store_dword v1, v0, s[0:1]
.LBB14_46:
	s_endpgm
.LBB14_47:
	s_lshl_b32 s0, s11, 2
	v_mov_b32_e32 v1, s0
	s_waitcnt lgkmcnt(0)
	ds_read_b32 v1, v1
	s_waitcnt lgkmcnt(0)
	v_mul_f32_e32 v0, v0, v1
	v_cmp_eq_u32_e32 vcc, 63, v6
	s_and_saveexec_b64 s[0:1], vcc
	s_cbranch_execnz .LBB14_45
	s_branch .LBB14_46
	.section	.rodata,"a",@progbits
	.p2align	6, 0x0
	.amdhsa_kernel _ZN9rocsparseL12csrsv_kernelILj1024ELj64ELb0ElifEEvT3_NS_24const_host_device_scalarIT4_EEPKT2_PKS1_PKS3_SB_lPS3_PiS9_iPS1_21rocsparse_index_base_20rocsparse_fill_mode_20rocsparse_diag_type_b
		.amdhsa_group_segment_fixed_size 64
		.amdhsa_private_segment_fixed_size 0
		.amdhsa_kernarg_size 112
		.amdhsa_user_sgpr_count 6
		.amdhsa_user_sgpr_private_segment_buffer 1
		.amdhsa_user_sgpr_dispatch_ptr 0
		.amdhsa_user_sgpr_queue_ptr 0
		.amdhsa_user_sgpr_kernarg_segment_ptr 1
		.amdhsa_user_sgpr_dispatch_id 0
		.amdhsa_user_sgpr_flat_scratch_init 0
		.amdhsa_user_sgpr_kernarg_preload_length 0
		.amdhsa_user_sgpr_kernarg_preload_offset 0
		.amdhsa_user_sgpr_private_segment_size 0
		.amdhsa_uses_dynamic_stack 0
		.amdhsa_system_sgpr_private_segment_wavefront_offset 0
		.amdhsa_system_sgpr_workgroup_id_x 1
		.amdhsa_system_sgpr_workgroup_id_y 0
		.amdhsa_system_sgpr_workgroup_id_z 0
		.amdhsa_system_sgpr_workgroup_info 0
		.amdhsa_system_vgpr_workitem_id 0
		.amdhsa_next_free_vgpr 14
		.amdhsa_next_free_sgpr 39
		.amdhsa_accum_offset 16
		.amdhsa_reserve_vcc 1
		.amdhsa_reserve_flat_scratch 0
		.amdhsa_float_round_mode_32 0
		.amdhsa_float_round_mode_16_64 0
		.amdhsa_float_denorm_mode_32 3
		.amdhsa_float_denorm_mode_16_64 3
		.amdhsa_dx10_clamp 1
		.amdhsa_ieee_mode 1
		.amdhsa_fp16_overflow 0
		.amdhsa_tg_split 0
		.amdhsa_exception_fp_ieee_invalid_op 0
		.amdhsa_exception_fp_denorm_src 0
		.amdhsa_exception_fp_ieee_div_zero 0
		.amdhsa_exception_fp_ieee_overflow 0
		.amdhsa_exception_fp_ieee_underflow 0
		.amdhsa_exception_fp_ieee_inexact 0
		.amdhsa_exception_int_div_zero 0
	.end_amdhsa_kernel
	.section	.text._ZN9rocsparseL12csrsv_kernelILj1024ELj64ELb0ElifEEvT3_NS_24const_host_device_scalarIT4_EEPKT2_PKS1_PKS3_SB_lPS3_PiS9_iPS1_21rocsparse_index_base_20rocsparse_fill_mode_20rocsparse_diag_type_b,"axG",@progbits,_ZN9rocsparseL12csrsv_kernelILj1024ELj64ELb0ElifEEvT3_NS_24const_host_device_scalarIT4_EEPKT2_PKS1_PKS3_SB_lPS3_PiS9_iPS1_21rocsparse_index_base_20rocsparse_fill_mode_20rocsparse_diag_type_b,comdat
.Lfunc_end14:
	.size	_ZN9rocsparseL12csrsv_kernelILj1024ELj64ELb0ElifEEvT3_NS_24const_host_device_scalarIT4_EEPKT2_PKS1_PKS3_SB_lPS3_PiS9_iPS1_21rocsparse_index_base_20rocsparse_fill_mode_20rocsparse_diag_type_b, .Lfunc_end14-_ZN9rocsparseL12csrsv_kernelILj1024ELj64ELb0ElifEEvT3_NS_24const_host_device_scalarIT4_EEPKT2_PKS1_PKS3_SB_lPS3_PiS9_iPS1_21rocsparse_index_base_20rocsparse_fill_mode_20rocsparse_diag_type_b
                                        ; -- End function
	.section	.AMDGPU.csdata,"",@progbits
; Kernel info:
; codeLenInByte = 1368
; NumSgprs: 43
; NumVgprs: 14
; NumAgprs: 0
; TotalNumVgprs: 14
; ScratchSize: 0
; MemoryBound: 0
; FloatMode: 240
; IeeeMode: 1
; LDSByteSize: 64 bytes/workgroup (compile time only)
; SGPRBlocks: 5
; VGPRBlocks: 1
; NumSGPRsForWavesPerEU: 43
; NumVGPRsForWavesPerEU: 14
; AccumOffset: 16
; Occupancy: 8
; WaveLimiterHint : 1
; COMPUTE_PGM_RSRC2:SCRATCH_EN: 0
; COMPUTE_PGM_RSRC2:USER_SGPR: 6
; COMPUTE_PGM_RSRC2:TRAP_HANDLER: 0
; COMPUTE_PGM_RSRC2:TGID_X_EN: 1
; COMPUTE_PGM_RSRC2:TGID_Y_EN: 0
; COMPUTE_PGM_RSRC2:TGID_Z_EN: 0
; COMPUTE_PGM_RSRC2:TIDIG_COMP_CNT: 0
; COMPUTE_PGM_RSRC3_GFX90A:ACCUM_OFFSET: 3
; COMPUTE_PGM_RSRC3_GFX90A:TG_SPLIT: 0
	.section	.text._ZN9rocsparseL12csrsv_kernelILj1024ELj64ELb1ElidEEvT3_NS_24const_host_device_scalarIT4_EEPKT2_PKS1_PKS3_SB_lPS3_PiS9_iPS1_21rocsparse_index_base_20rocsparse_fill_mode_20rocsparse_diag_type_b,"axG",@progbits,_ZN9rocsparseL12csrsv_kernelILj1024ELj64ELb1ElidEEvT3_NS_24const_host_device_scalarIT4_EEPKT2_PKS1_PKS3_SB_lPS3_PiS9_iPS1_21rocsparse_index_base_20rocsparse_fill_mode_20rocsparse_diag_type_b,comdat
	.globl	_ZN9rocsparseL12csrsv_kernelILj1024ELj64ELb1ElidEEvT3_NS_24const_host_device_scalarIT4_EEPKT2_PKS1_PKS3_SB_lPS3_PiS9_iPS1_21rocsparse_index_base_20rocsparse_fill_mode_20rocsparse_diag_type_b ; -- Begin function _ZN9rocsparseL12csrsv_kernelILj1024ELj64ELb1ElidEEvT3_NS_24const_host_device_scalarIT4_EEPKT2_PKS1_PKS3_SB_lPS3_PiS9_iPS1_21rocsparse_index_base_20rocsparse_fill_mode_20rocsparse_diag_type_b
	.p2align	8
	.type	_ZN9rocsparseL12csrsv_kernelILj1024ELj64ELb1ElidEEvT3_NS_24const_host_device_scalarIT4_EEPKT2_PKS1_PKS3_SB_lPS3_PiS9_iPS1_21rocsparse_index_base_20rocsparse_fill_mode_20rocsparse_diag_type_b,@function
_ZN9rocsparseL12csrsv_kernelILj1024ELj64ELb1ElidEEvT3_NS_24const_host_device_scalarIT4_EEPKT2_PKS1_PKS3_SB_lPS3_PiS9_iPS1_21rocsparse_index_base_20rocsparse_fill_mode_20rocsparse_diag_type_b: ; @_ZN9rocsparseL12csrsv_kernelILj1024ELj64ELb1ElidEEvT3_NS_24const_host_device_scalarIT4_EEPKT2_PKS1_PKS3_SB_lPS3_PiS9_iPS1_21rocsparse_index_base_20rocsparse_fill_mode_20rocsparse_diag_type_b
; %bb.0:
	s_load_dwordx4 s[8:11], s[4:5], 0x60
	s_load_dwordx2 s[0:1], s[4:5], 0x8
	s_waitcnt lgkmcnt(0)
	s_bitcmp1_b32 s11, 0
	s_cselect_b64 s[2:3], -1, 0
	s_and_b64 vcc, exec, s[2:3]
	v_pk_mov_b32 v[4:5], s[0:1], s[0:1] op_sel:[0,1]
	s_cbranch_vccnz .LBB15_2
; %bb.1:
	v_pk_mov_b32 v[2:3], s[0:1], s[0:1] op_sel:[0,1]
	flat_load_dwordx2 v[4:5], v[2:3]
.LBB15_2:
	s_load_dword s1, s[4:5], 0x0
	v_lshrrev_b32_e32 v1, 6, v0
	v_readfirstlane_b32 s11, v1
	s_lshl_b32 s0, s6, 4
	s_add_i32 s0, s11, s0
	s_waitcnt lgkmcnt(0)
	s_cmp_ge_i32 s0, s1
	s_cbranch_scc1 .LBB15_48
; %bb.3:
	s_load_dword s1, s[4:5], 0x50
	s_load_dwordx2 s[2:3], s[4:5], 0x48
	v_and_b32_e32 v10, 63, v0
	v_cmp_eq_u32_e32 vcc, 0, v10
	v_pk_mov_b32 v[2:3], 0, 0
	s_waitcnt lgkmcnt(0)
	s_add_i32 s0, s0, s1
	s_ashr_i32 s1, s0, 31
	s_lshl_b64 s[0:1], s[0:1], 2
	s_add_u32 s0, s2, s0
	s_addc_u32 s1, s3, s1
	s_load_dword s6, s[0:1], 0x0
	s_load_dwordx2 s[2:3], s[4:5], 0x10
	s_load_dwordx4 s[12:15], s[4:5], 0x38
	s_waitcnt lgkmcnt(0)
	s_ashr_i32 s7, s6, 31
	s_lshl_b64 s[20:21], s[6:7], 3
	s_add_u32 s0, s2, s20
	s_addc_u32 s1, s3, s21
	s_load_dwordx4 s[0:3], s[0:1], 0x0
	s_and_saveexec_b64 s[16:17], vcc
	s_cbranch_execz .LBB15_5
; %bb.4:
	s_load_dwordx4 s[24:27], s[4:5], 0x28
	s_waitcnt lgkmcnt(0)
	s_mul_i32 s18, s6, s27
	s_mul_hi_u32 s19, s6, s26
	s_mul_i32 s22, s7, s26
	s_add_i32 s18, s19, s18
	s_add_i32 s19, s18, s22
	s_mul_i32 s18, s6, s26
	s_lshl_b64 s[18:19], s[18:19], 3
	s_add_u32 s18, s24, s18
	s_addc_u32 s19, s25, s19
	s_load_dwordx2 s[18:19], s[18:19], 0x0
	s_waitcnt vmcnt(0) lgkmcnt(0)
	v_mul_f64 v[2:3], v[4:5], s[18:19]
.LBB15_5:
	s_or_b64 exec, exec, s[16:17]
	s_waitcnt lgkmcnt(0)
	s_sub_u32 s22, s2, s8
	v_subrev_co_u32_e32 v0, vcc, s8, v10
	s_subb_u32 s23, s3, 0
	v_subb_co_u32_e64 v1, s[2:3], 0, 0, vcc
	s_waitcnt vmcnt(0)
	v_mov_b32_e32 v4, s1
	v_add_co_u32_e32 v0, vcc, s0, v0
	v_addc_co_u32_e32 v1, vcc, v4, v1, vcc
	v_cmp_gt_i64_e32 vcc, s[22:23], v[0:1]
	s_and_saveexec_b64 s[24:25], vcc
	s_cbranch_execz .LBB15_45
; %bb.6:
	s_load_dwordx2 s[26:27], s[4:5], 0x58
	s_load_dwordx4 s[16:19], s[4:5], 0x18
	s_cmp_eq_u32 s10, 0
	s_cselect_b64 s[28:29], -1, 0
	v_cndmask_b32_e64 v4, 0, 1, s[28:29]
	s_add_i32 s33, s6, s8
	s_lshl_b32 s40, s11, 3
	s_mov_b64 s[30:31], 0
	s_waitcnt lgkmcnt(0)
	v_mov_b32_e32 v11, s17
	v_mov_b32_e32 v12, s19
	;; [unrolled: 1-line block ×3, first 2 shown]
	v_cmp_ne_u32_e64 s[0:1], 1, v4
	s_branch .LBB15_8
.LBB15_7:                               ;   in Loop: Header=BB15_8 Depth=1
	s_or_b64 exec, exec, s[34:35]
	s_and_b64 s[2:3], exec, s[2:3]
	s_or_b64 s[30:31], s[2:3], s[30:31]
	v_pk_mov_b32 v[2:3], v[8:9], v[8:9] op_sel:[0,1]
	s_andn2_b64 exec, exec, s[30:31]
	s_cbranch_execz .LBB15_44
.LBB15_8:                               ; =>This Loop Header: Depth=1
                                        ;     Child Loop BB15_34 Depth 2
                                        ;       Child Loop BB15_35 Depth 3
	v_lshlrev_b64 v[4:5], 2, v[0:1]
	v_add_co_u32_e32 v4, vcc, s16, v4
	v_addc_co_u32_e32 v5, vcc, v11, v5, vcc
	global_load_dword v6, v[4:5], off glc slc
	v_lshlrev_b64 v[4:5], 3, v[0:1]
	v_add_co_u32_e32 v4, vcc, s18, v4
	v_addc_co_u32_e32 v5, vcc, v12, v5, vcc
	global_load_dwordx2 v[4:5], v[4:5], off glc slc
	s_waitcnt vmcnt(1)
	v_subrev_u32_e32 v6, s8, v6
	v_cmp_eq_u32_e32 vcc, s6, v6
	s_and_b64 s[4:5], s[28:29], vcc
	s_waitcnt vmcnt(0)
	v_cmp_eq_f64_e64 s[2:3], 0, v[4:5]
	s_and_b64 s[2:3], s[2:3], s[4:5]
	s_and_saveexec_b64 s[4:5], s[2:3]
	s_cbranch_execz .LBB15_12
; %bb.9:                                ;   in Loop: Header=BB15_8 Depth=1
	v_mbcnt_lo_u32_b32 v4, exec_lo, 0
	v_mbcnt_hi_u32_b32 v4, exec_hi, v4
	v_cmp_eq_u32_e64 s[2:3], 0, v4
	s_and_saveexec_b64 s[34:35], s[2:3]
	s_cbranch_execz .LBB15_11
; %bb.10:                               ;   in Loop: Header=BB15_8 Depth=1
	v_mov_b32_e32 v4, s33
	global_atomic_smin v13, v4, s[26:27]
.LBB15_11:                              ;   in Loop: Header=BB15_8 Depth=1
	s_or_b64 exec, exec, s[34:35]
	v_mov_b32_e32 v4, 0
	v_mov_b32_e32 v5, 0x3ff00000
.LBB15_12:                              ;   in Loop: Header=BB15_8 Depth=1
	s_or_b64 exec, exec, s[4:5]
	v_cmp_ne_u32_e64 s[2:3], s6, v6
	s_cmp_lt_i32 s9, 1
	s_mov_b64 s[34:35], 0
	s_cbranch_scc1 .LBB15_21
; %bb.13:                               ;   in Loop: Header=BB15_8 Depth=1
	s_cmp_eq_u32 s9, 1
	s_cbranch_scc0 .LBB15_22
; %bb.14:                               ;   in Loop: Header=BB15_8 Depth=1
	v_cmp_le_i32_e64 s[4:5], s6, v6
	s_mov_b64 s[36:37], 0
	s_and_saveexec_b64 s[38:39], s[4:5]
	s_cbranch_execz .LBB15_20
; %bb.15:                               ;   in Loop: Header=BB15_8 Depth=1
	s_mov_b64 s[36:37], -1
	s_and_saveexec_b64 s[4:5], vcc
	s_xor_b64 s[4:5], exec, s[4:5]
	s_cbranch_execz .LBB15_19
; %bb.16:                               ;   in Loop: Header=BB15_8 Depth=1
	s_and_b64 vcc, exec, s[0:1]
	s_cbranch_vccnz .LBB15_18
; %bb.17:                               ;   in Loop: Header=BB15_8 Depth=1
	v_div_scale_f64 v[8:9], s[36:37], v[4:5], v[4:5], 1.0
	v_rcp_f64_e32 v[14:15], v[8:9]
	v_div_scale_f64 v[16:17], vcc, 1.0, v[4:5], 1.0
	v_mov_b32_e32 v7, s40
	v_fma_f64 v[18:19], -v[8:9], v[14:15], 1.0
	v_fmac_f64_e32 v[14:15], v[14:15], v[18:19]
	v_fma_f64 v[18:19], -v[8:9], v[14:15], 1.0
	v_fmac_f64_e32 v[14:15], v[14:15], v[18:19]
	v_mul_f64 v[18:19], v[16:17], v[14:15]
	v_fma_f64 v[8:9], -v[8:9], v[18:19], v[16:17]
	v_div_fmas_f64 v[8:9], v[8:9], v[14:15], v[18:19]
	v_div_fixup_f64 v[8:9], v[8:9], v[4:5], 1.0
	ds_write_b64 v7, v[8:9]
.LBB15_18:                              ;   in Loop: Header=BB15_8 Depth=1
	s_xor_b64 s[36:37], exec, -1
.LBB15_19:                              ;   in Loop: Header=BB15_8 Depth=1
	s_or_b64 exec, exec, s[4:5]
	s_and_b64 s[36:37], s[36:37], exec
.LBB15_20:                              ;   in Loop: Header=BB15_8 Depth=1
	s_or_b64 exec, exec, s[38:39]
	s_mov_b32 s17, 4
	v_pk_mov_b32 v[8:9], v[2:3], v[2:3] op_sel:[0,1]
	s_branch .LBB15_23
.LBB15_21:                              ;   in Loop: Header=BB15_8 Depth=1
	s_mov_b64 s[36:37], 0
                                        ; implicit-def: $sgpr17
                                        ; implicit-def: $vgpr8_vgpr9
	s_cbranch_execnz .LBB15_24
	s_branch .LBB15_26
.LBB15_22:                              ;   in Loop: Header=BB15_8 Depth=1
	s_mov_b64 s[36:37], -1
                                        ; implicit-def: $sgpr17
                                        ; implicit-def: $vgpr8_vgpr9
.LBB15_23:                              ;   in Loop: Header=BB15_8 Depth=1
	s_branch .LBB15_26
.LBB15_24:                              ;   in Loop: Header=BB15_8 Depth=1
	s_cmp_eq_u32 s9, 0
	s_cbranch_scc1 .LBB15_28
; %bb.25:                               ;   in Loop: Header=BB15_8 Depth=1
	s_mov_b64 s[36:37], -1
                                        ; implicit-def: $sgpr17
                                        ; implicit-def: $vgpr8_vgpr9
.LBB15_26:                              ;   in Loop: Header=BB15_8 Depth=1
	v_mov_b32_e32 v7, s17
	s_and_saveexec_b64 s[2:3], s[36:37]
	s_cbranch_execnz .LBB15_31
.LBB15_27:                              ;   in Loop: Header=BB15_8 Depth=1
	s_or_b64 exec, exec, s[2:3]
	s_and_saveexec_b64 s[2:3], s[34:35]
	s_cbranch_execnz .LBB15_37
	s_branch .LBB15_40
.LBB15_28:                              ;   in Loop: Header=BB15_8 Depth=1
	v_cmp_ge_i32_e32 vcc, s6, v6
	s_mov_b64 s[36:37], 0
	s_and_saveexec_b64 s[4:5], vcc
; %bb.29:                               ;   in Loop: Header=BB15_8 Depth=1
	s_mov_b64 s[34:35], exec
	s_and_b64 s[36:37], s[2:3], exec
; %bb.30:                               ;   in Loop: Header=BB15_8 Depth=1
	s_or_b64 exec, exec, s[4:5]
	s_mov_b32 s17, 2
	v_pk_mov_b32 v[8:9], v[2:3], v[2:3] op_sel:[0,1]
	v_mov_b32_e32 v7, s17
	s_and_saveexec_b64 s[2:3], s[36:37]
	s_cbranch_execz .LBB15_27
.LBB15_31:                              ;   in Loop: Header=BB15_8 Depth=1
	v_ashrrev_i32_e32 v7, 31, v6
	v_lshlrev_b64 v[8:9], 2, v[6:7]
	v_mov_b32_e32 v14, s15
	v_add_co_u32_e32 v8, vcc, s14, v8
	v_addc_co_u32_e32 v9, vcc, v14, v9, vcc
	global_load_dword v14, v[8:9], off glc
	s_waitcnt vmcnt(0)
	v_cmp_eq_u32_e32 vcc, 0, v14
	s_and_saveexec_b64 s[4:5], vcc
	s_cbranch_execz .LBB15_36
; %bb.32:                               ;   in Loop: Header=BB15_8 Depth=1
	s_mov_b32 s17, 0
	s_mov_b64 s[36:37], 0
	s_branch .LBB15_34
.LBB15_33:                              ;   in Loop: Header=BB15_34 Depth=2
	global_load_dword v14, v[8:9], off glc
	s_cmpk_lt_u32 s17, 0xf43
	s_cselect_b64 s[38:39], -1, 0
	s_cmp_lg_u64 s[38:39], 0
	s_addc_u32 s17, s17, 0
	s_waitcnt vmcnt(0)
	v_cmp_ne_u32_e32 vcc, 0, v14
	s_or_b64 s[36:37], vcc, s[36:37]
	s_andn2_b64 exec, exec, s[36:37]
	s_cbranch_execz .LBB15_36
.LBB15_34:                              ;   Parent Loop BB15_8 Depth=1
                                        ; =>  This Loop Header: Depth=2
                                        ;       Child Loop BB15_35 Depth 3
	s_cmp_eq_u32 s17, 0
	s_mov_b32 s19, s17
	s_cbranch_scc1 .LBB15_33
.LBB15_35:                              ;   Parent Loop BB15_8 Depth=1
                                        ;     Parent Loop BB15_34 Depth=2
                                        ; =>    This Inner Loop Header: Depth=3
	s_add_i32 s19, s19, -1
	s_cmp_eq_u32 s19, 0
	s_sleep 1
	s_cbranch_scc0 .LBB15_35
	s_branch .LBB15_33
.LBB15_36:                              ;   in Loop: Header=BB15_8 Depth=1
	s_or_b64 exec, exec, s[4:5]
	v_lshlrev_b64 v[6:7], 3, v[6:7]
	v_mov_b32_e32 v8, s13
	v_add_co_u32_e32 v6, vcc, s12, v6
	v_addc_co_u32_e32 v7, vcc, v8, v7, vcc
	s_waitcnt lgkmcnt(0)
	buffer_wbinvl1_vol
	global_load_dwordx2 v[8:9], v[6:7], off
	v_mov_b32_e32 v7, 0
	s_andn2_b64 s[34:35], s[34:35], exec
	s_waitcnt vmcnt(0)
	v_fma_f64 v[8:9], -v[4:5], v[8:9], v[2:3]
	s_or_b64 exec, exec, s[2:3]
	s_and_saveexec_b64 s[2:3], s[34:35]
	s_cbranch_execz .LBB15_40
.LBB15_37:                              ;   in Loop: Header=BB15_8 Depth=1
	s_and_b64 vcc, exec, s[0:1]
	s_cbranch_vccnz .LBB15_39
; %bb.38:                               ;   in Loop: Header=BB15_8 Depth=1
	v_div_scale_f64 v[6:7], s[4:5], v[4:5], v[4:5], 1.0
	v_rcp_f64_e32 v[8:9], v[6:7]
	v_div_scale_f64 v[14:15], vcc, 1.0, v[4:5], 1.0
	v_fma_f64 v[16:17], -v[6:7], v[8:9], 1.0
	v_fmac_f64_e32 v[8:9], v[8:9], v[16:17]
	v_fma_f64 v[16:17], -v[6:7], v[8:9], 1.0
	v_fmac_f64_e32 v[8:9], v[8:9], v[16:17]
	v_mul_f64 v[16:17], v[14:15], v[8:9]
	v_fma_f64 v[6:7], -v[6:7], v[16:17], v[14:15]
	v_div_fmas_f64 v[6:7], v[6:7], v[8:9], v[16:17]
	v_div_fixup_f64 v[4:5], v[6:7], v[4:5], 1.0
	v_mov_b32_e32 v6, s40
	ds_write_b64 v6, v[4:5]
.LBB15_39:                              ;   in Loop: Header=BB15_8 Depth=1
	v_mov_b32_e32 v7, 2
	v_pk_mov_b32 v[8:9], v[2:3], v[2:3] op_sel:[0,1]
.LBB15_40:                              ;   in Loop: Header=BB15_8 Depth=1
	s_or_b64 exec, exec, s[2:3]
	v_cmp_gt_i32_e32 vcc, 4, v7
	s_mov_b64 s[2:3], -1
	s_mov_b64 s[4:5], -1
	s_and_saveexec_b64 s[34:35], vcc
; %bb.41:                               ;   in Loop: Header=BB15_8 Depth=1
	v_cmp_eq_u32_e32 vcc, 0, v7
	s_orn2_b64 s[4:5], vcc, exec
; %bb.42:                               ;   in Loop: Header=BB15_8 Depth=1
	s_or_b64 exec, exec, s[34:35]
	s_and_saveexec_b64 s[34:35], s[4:5]
	s_cbranch_execz .LBB15_7
; %bb.43:                               ;   in Loop: Header=BB15_8 Depth=1
	v_add_co_u32_e32 v0, vcc, 64, v0
	v_addc_co_u32_e32 v1, vcc, 0, v1, vcc
	v_cmp_le_i64_e32 vcc, s[22:23], v[0:1]
	s_orn2_b64 s[2:3], vcc, exec
	s_branch .LBB15_7
.LBB15_44:
	s_or_b64 exec, exec, s[30:31]
	v_pk_mov_b32 v[2:3], v[8:9], v[8:9] op_sel:[0,1]
.LBB15_45:
	s_or_b64 exec, exec, s[24:25]
	s_nop 0
	v_mov_b32_dpp v0, v2 row_shr:1 row_mask:0xf bank_mask:0xf
	v_mov_b32_dpp v1, v3 row_shr:1 row_mask:0xf bank_mask:0xf
	v_add_f64 v[0:1], v[2:3], v[0:1]
	s_cmp_lg_u32 s10, 0
	s_nop 0
	v_mov_b32_dpp v2, v0 row_shr:2 row_mask:0xf bank_mask:0xf
	v_mov_b32_dpp v3, v1 row_shr:2 row_mask:0xf bank_mask:0xf
	v_add_f64 v[0:1], v[0:1], v[2:3]
	s_nop 1
	v_mov_b32_dpp v2, v0 row_shr:4 row_mask:0xf bank_mask:0xe
	v_mov_b32_dpp v3, v1 row_shr:4 row_mask:0xf bank_mask:0xe
	v_add_f64 v[0:1], v[0:1], v[2:3]
	;; [unrolled: 4-line block ×3, first 2 shown]
	s_nop 1
	v_mov_b32_dpp v2, v0 row_bcast:15 row_mask:0xa bank_mask:0xf
	v_mov_b32_dpp v3, v1 row_bcast:15 row_mask:0xa bank_mask:0xf
	v_add_f64 v[0:1], v[0:1], v[2:3]
	s_nop 1
	v_mov_b32_dpp v2, v0 row_bcast:31 row_mask:0xc bank_mask:0xf
	v_mov_b32_dpp v3, v1 row_bcast:31 row_mask:0xc bank_mask:0xf
	v_add_f64 v[0:1], v[0:1], v[2:3]
	s_cbranch_scc0 .LBB15_49
; %bb.46:
	v_cmp_eq_u32_e32 vcc, 63, v10
	s_and_saveexec_b64 s[0:1], vcc
	s_cbranch_execz .LBB15_48
.LBB15_47:
	s_add_u32 s0, s12, s20
	s_addc_u32 s1, s13, s21
	s_lshl_b64 s[2:3], s[6:7], 2
	v_mov_b32_e32 v2, 0
	s_add_u32 s2, s14, s2
	s_addc_u32 s3, s15, s3
	global_store_dwordx2 v2, v[0:1], s[0:1] glc slc
	v_mov_b32_e32 v0, 1
	s_waitcnt vmcnt(0)
	global_store_dword v2, v0, s[2:3]
.LBB15_48:
	s_endpgm
.LBB15_49:
	s_lshl_b32 s0, s11, 3
	v_mov_b32_e32 v2, s0
	s_waitcnt lgkmcnt(0)
	ds_read_b64 v[2:3], v2
	s_waitcnt lgkmcnt(0)
	v_mul_f64 v[0:1], v[0:1], v[2:3]
	v_cmp_eq_u32_e32 vcc, 63, v10
	s_and_saveexec_b64 s[0:1], vcc
	s_cbranch_execnz .LBB15_47
	s_branch .LBB15_48
	.section	.rodata,"a",@progbits
	.p2align	6, 0x0
	.amdhsa_kernel _ZN9rocsparseL12csrsv_kernelILj1024ELj64ELb1ElidEEvT3_NS_24const_host_device_scalarIT4_EEPKT2_PKS1_PKS3_SB_lPS3_PiS9_iPS1_21rocsparse_index_base_20rocsparse_fill_mode_20rocsparse_diag_type_b
		.amdhsa_group_segment_fixed_size 128
		.amdhsa_private_segment_fixed_size 0
		.amdhsa_kernarg_size 112
		.amdhsa_user_sgpr_count 6
		.amdhsa_user_sgpr_private_segment_buffer 1
		.amdhsa_user_sgpr_dispatch_ptr 0
		.amdhsa_user_sgpr_queue_ptr 0
		.amdhsa_user_sgpr_kernarg_segment_ptr 1
		.amdhsa_user_sgpr_dispatch_id 0
		.amdhsa_user_sgpr_flat_scratch_init 0
		.amdhsa_user_sgpr_kernarg_preload_length 0
		.amdhsa_user_sgpr_kernarg_preload_offset 0
		.amdhsa_user_sgpr_private_segment_size 0
		.amdhsa_uses_dynamic_stack 0
		.amdhsa_system_sgpr_private_segment_wavefront_offset 0
		.amdhsa_system_sgpr_workgroup_id_x 1
		.amdhsa_system_sgpr_workgroup_id_y 0
		.amdhsa_system_sgpr_workgroup_id_z 0
		.amdhsa_system_sgpr_workgroup_info 0
		.amdhsa_system_vgpr_workitem_id 0
		.amdhsa_next_free_vgpr 20
		.amdhsa_next_free_sgpr 41
		.amdhsa_accum_offset 20
		.amdhsa_reserve_vcc 1
		.amdhsa_reserve_flat_scratch 0
		.amdhsa_float_round_mode_32 0
		.amdhsa_float_round_mode_16_64 0
		.amdhsa_float_denorm_mode_32 3
		.amdhsa_float_denorm_mode_16_64 3
		.amdhsa_dx10_clamp 1
		.amdhsa_ieee_mode 1
		.amdhsa_fp16_overflow 0
		.amdhsa_tg_split 0
		.amdhsa_exception_fp_ieee_invalid_op 0
		.amdhsa_exception_fp_denorm_src 0
		.amdhsa_exception_fp_ieee_div_zero 0
		.amdhsa_exception_fp_ieee_overflow 0
		.amdhsa_exception_fp_ieee_underflow 0
		.amdhsa_exception_fp_ieee_inexact 0
		.amdhsa_exception_int_div_zero 0
	.end_amdhsa_kernel
	.section	.text._ZN9rocsparseL12csrsv_kernelILj1024ELj64ELb1ElidEEvT3_NS_24const_host_device_scalarIT4_EEPKT2_PKS1_PKS3_SB_lPS3_PiS9_iPS1_21rocsparse_index_base_20rocsparse_fill_mode_20rocsparse_diag_type_b,"axG",@progbits,_ZN9rocsparseL12csrsv_kernelILj1024ELj64ELb1ElidEEvT3_NS_24const_host_device_scalarIT4_EEPKT2_PKS1_PKS3_SB_lPS3_PiS9_iPS1_21rocsparse_index_base_20rocsparse_fill_mode_20rocsparse_diag_type_b,comdat
.Lfunc_end15:
	.size	_ZN9rocsparseL12csrsv_kernelILj1024ELj64ELb1ElidEEvT3_NS_24const_host_device_scalarIT4_EEPKT2_PKS1_PKS3_SB_lPS3_PiS9_iPS1_21rocsparse_index_base_20rocsparse_fill_mode_20rocsparse_diag_type_b, .Lfunc_end15-_ZN9rocsparseL12csrsv_kernelILj1024ELj64ELb1ElidEEvT3_NS_24const_host_device_scalarIT4_EEPKT2_PKS1_PKS3_SB_lPS3_PiS9_iPS1_21rocsparse_index_base_20rocsparse_fill_mode_20rocsparse_diag_type_b
                                        ; -- End function
	.section	.AMDGPU.csdata,"",@progbits
; Kernel info:
; codeLenInByte = 1572
; NumSgprs: 45
; NumVgprs: 20
; NumAgprs: 0
; TotalNumVgprs: 20
; ScratchSize: 0
; MemoryBound: 0
; FloatMode: 240
; IeeeMode: 1
; LDSByteSize: 128 bytes/workgroup (compile time only)
; SGPRBlocks: 5
; VGPRBlocks: 2
; NumSGPRsForWavesPerEU: 45
; NumVGPRsForWavesPerEU: 20
; AccumOffset: 20
; Occupancy: 8
; WaveLimiterHint : 1
; COMPUTE_PGM_RSRC2:SCRATCH_EN: 0
; COMPUTE_PGM_RSRC2:USER_SGPR: 6
; COMPUTE_PGM_RSRC2:TRAP_HANDLER: 0
; COMPUTE_PGM_RSRC2:TGID_X_EN: 1
; COMPUTE_PGM_RSRC2:TGID_Y_EN: 0
; COMPUTE_PGM_RSRC2:TGID_Z_EN: 0
; COMPUTE_PGM_RSRC2:TIDIG_COMP_CNT: 0
; COMPUTE_PGM_RSRC3_GFX90A:ACCUM_OFFSET: 4
; COMPUTE_PGM_RSRC3_GFX90A:TG_SPLIT: 0
	.section	.text._ZN9rocsparseL12csrsv_kernelILj1024ELj32ELb0ElidEEvT3_NS_24const_host_device_scalarIT4_EEPKT2_PKS1_PKS3_SB_lPS3_PiS9_iPS1_21rocsparse_index_base_20rocsparse_fill_mode_20rocsparse_diag_type_b,"axG",@progbits,_ZN9rocsparseL12csrsv_kernelILj1024ELj32ELb0ElidEEvT3_NS_24const_host_device_scalarIT4_EEPKT2_PKS1_PKS3_SB_lPS3_PiS9_iPS1_21rocsparse_index_base_20rocsparse_fill_mode_20rocsparse_diag_type_b,comdat
	.globl	_ZN9rocsparseL12csrsv_kernelILj1024ELj32ELb0ElidEEvT3_NS_24const_host_device_scalarIT4_EEPKT2_PKS1_PKS3_SB_lPS3_PiS9_iPS1_21rocsparse_index_base_20rocsparse_fill_mode_20rocsparse_diag_type_b ; -- Begin function _ZN9rocsparseL12csrsv_kernelILj1024ELj32ELb0ElidEEvT3_NS_24const_host_device_scalarIT4_EEPKT2_PKS1_PKS3_SB_lPS3_PiS9_iPS1_21rocsparse_index_base_20rocsparse_fill_mode_20rocsparse_diag_type_b
	.p2align	8
	.type	_ZN9rocsparseL12csrsv_kernelILj1024ELj32ELb0ElidEEvT3_NS_24const_host_device_scalarIT4_EEPKT2_PKS1_PKS3_SB_lPS3_PiS9_iPS1_21rocsparse_index_base_20rocsparse_fill_mode_20rocsparse_diag_type_b,@function
_ZN9rocsparseL12csrsv_kernelILj1024ELj32ELb0ElidEEvT3_NS_24const_host_device_scalarIT4_EEPKT2_PKS1_PKS3_SB_lPS3_PiS9_iPS1_21rocsparse_index_base_20rocsparse_fill_mode_20rocsparse_diag_type_b: ; @_ZN9rocsparseL12csrsv_kernelILj1024ELj32ELb0ElidEEvT3_NS_24const_host_device_scalarIT4_EEPKT2_PKS1_PKS3_SB_lPS3_PiS9_iPS1_21rocsparse_index_base_20rocsparse_fill_mode_20rocsparse_diag_type_b
; %bb.0:
	s_load_dwordx4 s[8:11], s[4:5], 0x60
	s_load_dwordx2 s[0:1], s[4:5], 0x8
	s_waitcnt lgkmcnt(0)
	s_bitcmp1_b32 s11, 0
	s_cselect_b64 s[2:3], -1, 0
	s_and_b64 vcc, exec, s[2:3]
	v_pk_mov_b32 v[4:5], s[0:1], s[0:1] op_sel:[0,1]
	s_cbranch_vccnz .LBB16_2
; %bb.1:
	v_pk_mov_b32 v[2:3], s[0:1], s[0:1] op_sel:[0,1]
	flat_load_dwordx2 v[4:5], v[2:3]
.LBB16_2:
	s_load_dword s1, s[4:5], 0x0
	v_lshrrev_b32_e32 v1, 5, v0
	v_readfirstlane_b32 s11, v1
	s_lshl_b32 s0, s6, 5
	s_add_i32 s0, s11, s0
	s_waitcnt lgkmcnt(0)
	s_cmp_ge_i32 s0, s1
	s_cbranch_scc1 .LBB16_46
; %bb.3:
	s_load_dword s1, s[4:5], 0x50
	s_load_dwordx2 s[2:3], s[4:5], 0x48
	v_and_b32_e32 v10, 31, v0
	v_cmp_eq_u32_e32 vcc, 0, v10
	v_pk_mov_b32 v[2:3], 0, 0
	s_waitcnt lgkmcnt(0)
	s_add_i32 s0, s0, s1
	s_ashr_i32 s1, s0, 31
	s_lshl_b64 s[0:1], s[0:1], 2
	s_add_u32 s0, s2, s0
	s_addc_u32 s1, s3, s1
	s_load_dword s6, s[0:1], 0x0
	s_load_dwordx2 s[2:3], s[4:5], 0x10
	s_load_dwordx4 s[12:15], s[4:5], 0x38
	s_waitcnt lgkmcnt(0)
	s_ashr_i32 s7, s6, 31
	s_lshl_b64 s[20:21], s[6:7], 3
	s_add_u32 s0, s2, s20
	s_addc_u32 s1, s3, s21
	s_load_dwordx4 s[0:3], s[0:1], 0x0
	s_and_saveexec_b64 s[16:17], vcc
	s_cbranch_execz .LBB16_5
; %bb.4:
	s_load_dwordx4 s[24:27], s[4:5], 0x28
	s_waitcnt lgkmcnt(0)
	s_mul_i32 s18, s6, s27
	s_mul_hi_u32 s19, s6, s26
	s_mul_i32 s22, s7, s26
	s_add_i32 s18, s19, s18
	s_add_i32 s19, s18, s22
	s_mul_i32 s18, s6, s26
	s_lshl_b64 s[18:19], s[18:19], 3
	s_add_u32 s18, s24, s18
	s_addc_u32 s19, s25, s19
	s_load_dwordx2 s[18:19], s[18:19], 0x0
	s_waitcnt vmcnt(0) lgkmcnt(0)
	v_mul_f64 v[2:3], v[4:5], s[18:19]
.LBB16_5:
	s_or_b64 exec, exec, s[16:17]
	s_waitcnt lgkmcnt(0)
	s_sub_u32 s22, s2, s8
	v_subrev_co_u32_e32 v0, vcc, s8, v10
	s_subb_u32 s23, s3, 0
	v_subb_co_u32_e64 v1, s[2:3], 0, 0, vcc
	s_waitcnt vmcnt(0)
	v_mov_b32_e32 v4, s1
	v_add_co_u32_e32 v0, vcc, s0, v0
	v_addc_co_u32_e32 v1, vcc, v4, v1, vcc
	v_cmp_gt_i64_e32 vcc, s[22:23], v[0:1]
	s_and_saveexec_b64 s[24:25], vcc
	s_cbranch_execz .LBB16_43
; %bb.6:
	s_load_dwordx2 s[26:27], s[4:5], 0x58
	s_load_dwordx4 s[16:19], s[4:5], 0x18
	s_cmp_eq_u32 s10, 0
	s_cselect_b64 s[28:29], -1, 0
	v_cndmask_b32_e64 v4, 0, 1, s[28:29]
	s_add_i32 s33, s6, s8
	s_lshl_b32 s40, s11, 3
	s_mov_b64 s[30:31], 0
	s_waitcnt lgkmcnt(0)
	v_mov_b32_e32 v11, s17
	v_mov_b32_e32 v12, s19
	;; [unrolled: 1-line block ×3, first 2 shown]
	v_cmp_ne_u32_e64 s[0:1], 1, v4
	s_branch .LBB16_8
.LBB16_7:                               ;   in Loop: Header=BB16_8 Depth=1
	s_or_b64 exec, exec, s[34:35]
	s_and_b64 s[2:3], exec, s[2:3]
	s_or_b64 s[30:31], s[2:3], s[30:31]
	v_pk_mov_b32 v[2:3], v[8:9], v[8:9] op_sel:[0,1]
	s_andn2_b64 exec, exec, s[30:31]
	s_cbranch_execz .LBB16_42
.LBB16_8:                               ; =>This Loop Header: Depth=1
                                        ;     Child Loop BB16_33 Depth 2
	v_lshlrev_b64 v[4:5], 2, v[0:1]
	v_add_co_u32_e32 v4, vcc, s16, v4
	v_addc_co_u32_e32 v5, vcc, v11, v5, vcc
	global_load_dword v6, v[4:5], off glc slc
	v_lshlrev_b64 v[4:5], 3, v[0:1]
	v_add_co_u32_e32 v4, vcc, s18, v4
	v_addc_co_u32_e32 v5, vcc, v12, v5, vcc
	global_load_dwordx2 v[4:5], v[4:5], off glc slc
	s_waitcnt vmcnt(1)
	v_subrev_u32_e32 v6, s8, v6
	v_cmp_eq_u32_e32 vcc, s6, v6
	s_and_b64 s[4:5], s[28:29], vcc
	s_waitcnt vmcnt(0)
	v_cmp_eq_f64_e64 s[2:3], 0, v[4:5]
	s_and_b64 s[2:3], s[2:3], s[4:5]
	s_and_saveexec_b64 s[4:5], s[2:3]
	s_cbranch_execz .LBB16_12
; %bb.9:                                ;   in Loop: Header=BB16_8 Depth=1
	v_mbcnt_lo_u32_b32 v4, exec_lo, 0
	v_mbcnt_hi_u32_b32 v4, exec_hi, v4
	v_cmp_eq_u32_e64 s[2:3], 0, v4
	s_and_saveexec_b64 s[34:35], s[2:3]
	s_cbranch_execz .LBB16_11
; %bb.10:                               ;   in Loop: Header=BB16_8 Depth=1
	v_mov_b32_e32 v4, s33
	global_atomic_smin v13, v4, s[26:27]
.LBB16_11:                              ;   in Loop: Header=BB16_8 Depth=1
	s_or_b64 exec, exec, s[34:35]
	v_mov_b32_e32 v4, 0
	v_mov_b32_e32 v5, 0x3ff00000
.LBB16_12:                              ;   in Loop: Header=BB16_8 Depth=1
	s_or_b64 exec, exec, s[4:5]
	v_cmp_ne_u32_e64 s[2:3], s6, v6
	s_cmp_lt_i32 s9, 1
	s_mov_b64 s[34:35], 0
	s_cbranch_scc1 .LBB16_21
; %bb.13:                               ;   in Loop: Header=BB16_8 Depth=1
	s_cmp_eq_u32 s9, 1
	s_cbranch_scc0 .LBB16_22
; %bb.14:                               ;   in Loop: Header=BB16_8 Depth=1
	v_cmp_le_i32_e64 s[4:5], s6, v6
	s_mov_b64 s[36:37], 0
	s_and_saveexec_b64 s[38:39], s[4:5]
	s_cbranch_execz .LBB16_20
; %bb.15:                               ;   in Loop: Header=BB16_8 Depth=1
	s_mov_b64 s[36:37], -1
	s_and_saveexec_b64 s[4:5], vcc
	s_xor_b64 s[4:5], exec, s[4:5]
	s_cbranch_execz .LBB16_19
; %bb.16:                               ;   in Loop: Header=BB16_8 Depth=1
	s_and_b64 vcc, exec, s[0:1]
	s_cbranch_vccnz .LBB16_18
; %bb.17:                               ;   in Loop: Header=BB16_8 Depth=1
	v_div_scale_f64 v[8:9], s[36:37], v[4:5], v[4:5], 1.0
	v_rcp_f64_e32 v[14:15], v[8:9]
	v_div_scale_f64 v[16:17], vcc, 1.0, v[4:5], 1.0
	v_mov_b32_e32 v7, s40
	v_fma_f64 v[18:19], -v[8:9], v[14:15], 1.0
	v_fmac_f64_e32 v[14:15], v[14:15], v[18:19]
	v_fma_f64 v[18:19], -v[8:9], v[14:15], 1.0
	v_fmac_f64_e32 v[14:15], v[14:15], v[18:19]
	v_mul_f64 v[18:19], v[16:17], v[14:15]
	v_fma_f64 v[8:9], -v[8:9], v[18:19], v[16:17]
	v_div_fmas_f64 v[8:9], v[8:9], v[14:15], v[18:19]
	v_div_fixup_f64 v[8:9], v[8:9], v[4:5], 1.0
	ds_write_b64 v7, v[8:9]
.LBB16_18:                              ;   in Loop: Header=BB16_8 Depth=1
	s_xor_b64 s[36:37], exec, -1
.LBB16_19:                              ;   in Loop: Header=BB16_8 Depth=1
	s_or_b64 exec, exec, s[4:5]
	s_and_b64 s[36:37], s[36:37], exec
.LBB16_20:                              ;   in Loop: Header=BB16_8 Depth=1
	s_or_b64 exec, exec, s[38:39]
	s_mov_b32 s17, 4
	v_pk_mov_b32 v[8:9], v[2:3], v[2:3] op_sel:[0,1]
	s_branch .LBB16_23
.LBB16_21:                              ;   in Loop: Header=BB16_8 Depth=1
	s_mov_b64 s[36:37], 0
                                        ; implicit-def: $sgpr17
                                        ; implicit-def: $vgpr8_vgpr9
	s_cbranch_execnz .LBB16_24
	s_branch .LBB16_26
.LBB16_22:                              ;   in Loop: Header=BB16_8 Depth=1
	s_mov_b64 s[36:37], -1
                                        ; implicit-def: $sgpr17
                                        ; implicit-def: $vgpr8_vgpr9
.LBB16_23:                              ;   in Loop: Header=BB16_8 Depth=1
	s_branch .LBB16_26
.LBB16_24:                              ;   in Loop: Header=BB16_8 Depth=1
	s_cmp_eq_u32 s9, 0
	s_cbranch_scc1 .LBB16_28
; %bb.25:                               ;   in Loop: Header=BB16_8 Depth=1
	s_mov_b64 s[36:37], -1
                                        ; implicit-def: $sgpr17
                                        ; implicit-def: $vgpr8_vgpr9
.LBB16_26:                              ;   in Loop: Header=BB16_8 Depth=1
	v_mov_b32_e32 v7, s17
	s_and_saveexec_b64 s[2:3], s[36:37]
	s_cbranch_execnz .LBB16_31
.LBB16_27:                              ;   in Loop: Header=BB16_8 Depth=1
	s_or_b64 exec, exec, s[2:3]
	s_and_saveexec_b64 s[2:3], s[34:35]
	s_cbranch_execnz .LBB16_35
	s_branch .LBB16_38
.LBB16_28:                              ;   in Loop: Header=BB16_8 Depth=1
	v_cmp_ge_i32_e32 vcc, s6, v6
	s_mov_b64 s[36:37], 0
	s_and_saveexec_b64 s[4:5], vcc
; %bb.29:                               ;   in Loop: Header=BB16_8 Depth=1
	s_mov_b64 s[34:35], exec
	s_and_b64 s[36:37], s[2:3], exec
; %bb.30:                               ;   in Loop: Header=BB16_8 Depth=1
	s_or_b64 exec, exec, s[4:5]
	s_mov_b32 s17, 2
	v_pk_mov_b32 v[8:9], v[2:3], v[2:3] op_sel:[0,1]
	v_mov_b32_e32 v7, s17
	s_and_saveexec_b64 s[2:3], s[36:37]
	s_cbranch_execz .LBB16_27
.LBB16_31:                              ;   in Loop: Header=BB16_8 Depth=1
	v_ashrrev_i32_e32 v7, 31, v6
	v_lshlrev_b64 v[8:9], 2, v[6:7]
	v_mov_b32_e32 v14, s15
	v_add_co_u32_e32 v8, vcc, s14, v8
	v_addc_co_u32_e32 v9, vcc, v14, v9, vcc
	global_load_dword v14, v[8:9], off glc
	s_waitcnt vmcnt(0)
	v_cmp_eq_u32_e32 vcc, 0, v14
	s_and_saveexec_b64 s[4:5], vcc
	s_cbranch_execz .LBB16_34
; %bb.32:                               ;   in Loop: Header=BB16_8 Depth=1
	s_mov_b64 s[36:37], 0
.LBB16_33:                              ;   Parent Loop BB16_8 Depth=1
                                        ; =>  This Inner Loop Header: Depth=2
	global_load_dword v14, v[8:9], off glc
	s_waitcnt vmcnt(0)
	v_cmp_ne_u32_e32 vcc, 0, v14
	s_or_b64 s[36:37], vcc, s[36:37]
	s_andn2_b64 exec, exec, s[36:37]
	s_cbranch_execnz .LBB16_33
.LBB16_34:                              ;   in Loop: Header=BB16_8 Depth=1
	s_or_b64 exec, exec, s[4:5]
	v_lshlrev_b64 v[6:7], 3, v[6:7]
	v_mov_b32_e32 v8, s13
	v_add_co_u32_e32 v6, vcc, s12, v6
	v_addc_co_u32_e32 v7, vcc, v8, v7, vcc
	s_waitcnt lgkmcnt(0)
	buffer_wbinvl1_vol
	global_load_dwordx2 v[8:9], v[6:7], off
	v_mov_b32_e32 v7, 0
	s_andn2_b64 s[34:35], s[34:35], exec
	s_waitcnt vmcnt(0)
	v_fma_f64 v[8:9], -v[4:5], v[8:9], v[2:3]
	s_or_b64 exec, exec, s[2:3]
	s_and_saveexec_b64 s[2:3], s[34:35]
	s_cbranch_execz .LBB16_38
.LBB16_35:                              ;   in Loop: Header=BB16_8 Depth=1
	s_and_b64 vcc, exec, s[0:1]
	s_cbranch_vccnz .LBB16_37
; %bb.36:                               ;   in Loop: Header=BB16_8 Depth=1
	v_div_scale_f64 v[6:7], s[4:5], v[4:5], v[4:5], 1.0
	v_rcp_f64_e32 v[8:9], v[6:7]
	v_div_scale_f64 v[14:15], vcc, 1.0, v[4:5], 1.0
	v_fma_f64 v[16:17], -v[6:7], v[8:9], 1.0
	v_fmac_f64_e32 v[8:9], v[8:9], v[16:17]
	v_fma_f64 v[16:17], -v[6:7], v[8:9], 1.0
	v_fmac_f64_e32 v[8:9], v[8:9], v[16:17]
	v_mul_f64 v[16:17], v[14:15], v[8:9]
	v_fma_f64 v[6:7], -v[6:7], v[16:17], v[14:15]
	v_div_fmas_f64 v[6:7], v[6:7], v[8:9], v[16:17]
	v_div_fixup_f64 v[4:5], v[6:7], v[4:5], 1.0
	v_mov_b32_e32 v6, s40
	ds_write_b64 v6, v[4:5]
.LBB16_37:                              ;   in Loop: Header=BB16_8 Depth=1
	v_mov_b32_e32 v7, 2
	v_pk_mov_b32 v[8:9], v[2:3], v[2:3] op_sel:[0,1]
.LBB16_38:                              ;   in Loop: Header=BB16_8 Depth=1
	s_or_b64 exec, exec, s[2:3]
	v_cmp_gt_i32_e32 vcc, 4, v7
	s_mov_b64 s[2:3], -1
	s_mov_b64 s[4:5], -1
	s_and_saveexec_b64 s[34:35], vcc
; %bb.39:                               ;   in Loop: Header=BB16_8 Depth=1
	v_cmp_eq_u32_e32 vcc, 0, v7
	s_orn2_b64 s[4:5], vcc, exec
; %bb.40:                               ;   in Loop: Header=BB16_8 Depth=1
	s_or_b64 exec, exec, s[34:35]
	s_and_saveexec_b64 s[34:35], s[4:5]
	s_cbranch_execz .LBB16_7
; %bb.41:                               ;   in Loop: Header=BB16_8 Depth=1
	v_add_co_u32_e32 v0, vcc, 32, v0
	v_addc_co_u32_e32 v1, vcc, 0, v1, vcc
	v_cmp_le_i64_e32 vcc, s[22:23], v[0:1]
	s_orn2_b64 s[2:3], vcc, exec
	s_branch .LBB16_7
.LBB16_42:
	s_or_b64 exec, exec, s[30:31]
	v_pk_mov_b32 v[2:3], v[8:9], v[8:9] op_sel:[0,1]
.LBB16_43:
	s_or_b64 exec, exec, s[24:25]
	s_nop 0
	v_mov_b32_dpp v0, v2 row_shr:1 row_mask:0xf bank_mask:0xf
	v_mov_b32_dpp v1, v3 row_shr:1 row_mask:0xf bank_mask:0xf
	v_add_f64 v[0:1], v[2:3], v[0:1]
	s_cmp_lg_u32 s10, 0
	s_nop 0
	v_mov_b32_dpp v2, v0 row_shr:2 row_mask:0xf bank_mask:0xf
	v_mov_b32_dpp v3, v1 row_shr:2 row_mask:0xf bank_mask:0xf
	v_add_f64 v[0:1], v[0:1], v[2:3]
	s_nop 1
	v_mov_b32_dpp v2, v0 row_shr:4 row_mask:0xf bank_mask:0xe
	v_mov_b32_dpp v3, v1 row_shr:4 row_mask:0xf bank_mask:0xe
	v_add_f64 v[0:1], v[0:1], v[2:3]
	;; [unrolled: 4-line block ×3, first 2 shown]
	s_nop 1
	v_mov_b32_dpp v2, v0 row_bcast:15 row_mask:0xa bank_mask:0xf
	v_mov_b32_dpp v3, v1 row_bcast:15 row_mask:0xa bank_mask:0xf
	v_add_f64 v[0:1], v[0:1], v[2:3]
	s_cbranch_scc0 .LBB16_47
; %bb.44:
	v_cmp_eq_u32_e32 vcc, 31, v10
	s_and_saveexec_b64 s[0:1], vcc
	s_cbranch_execz .LBB16_46
.LBB16_45:
	s_add_u32 s0, s12, s20
	s_addc_u32 s1, s13, s21
	s_lshl_b64 s[2:3], s[6:7], 2
	v_mov_b32_e32 v2, 0
	s_add_u32 s2, s14, s2
	s_addc_u32 s3, s15, s3
	global_store_dwordx2 v2, v[0:1], s[0:1] glc slc
	v_mov_b32_e32 v0, 1
	s_waitcnt vmcnt(0)
	global_store_dword v2, v0, s[2:3]
.LBB16_46:
	s_endpgm
.LBB16_47:
	s_lshl_b32 s0, s11, 3
	v_mov_b32_e32 v2, s0
	s_waitcnt lgkmcnt(0)
	ds_read_b64 v[2:3], v2
	s_waitcnt lgkmcnt(0)
	v_mul_f64 v[0:1], v[0:1], v[2:3]
	v_cmp_eq_u32_e32 vcc, 31, v10
	s_and_saveexec_b64 s[0:1], vcc
	s_cbranch_execnz .LBB16_45
	s_branch .LBB16_46
	.section	.rodata,"a",@progbits
	.p2align	6, 0x0
	.amdhsa_kernel _ZN9rocsparseL12csrsv_kernelILj1024ELj32ELb0ElidEEvT3_NS_24const_host_device_scalarIT4_EEPKT2_PKS1_PKS3_SB_lPS3_PiS9_iPS1_21rocsparse_index_base_20rocsparse_fill_mode_20rocsparse_diag_type_b
		.amdhsa_group_segment_fixed_size 256
		.amdhsa_private_segment_fixed_size 0
		.amdhsa_kernarg_size 112
		.amdhsa_user_sgpr_count 6
		.amdhsa_user_sgpr_private_segment_buffer 1
		.amdhsa_user_sgpr_dispatch_ptr 0
		.amdhsa_user_sgpr_queue_ptr 0
		.amdhsa_user_sgpr_kernarg_segment_ptr 1
		.amdhsa_user_sgpr_dispatch_id 0
		.amdhsa_user_sgpr_flat_scratch_init 0
		.amdhsa_user_sgpr_kernarg_preload_length 0
		.amdhsa_user_sgpr_kernarg_preload_offset 0
		.amdhsa_user_sgpr_private_segment_size 0
		.amdhsa_uses_dynamic_stack 0
		.amdhsa_system_sgpr_private_segment_wavefront_offset 0
		.amdhsa_system_sgpr_workgroup_id_x 1
		.amdhsa_system_sgpr_workgroup_id_y 0
		.amdhsa_system_sgpr_workgroup_id_z 0
		.amdhsa_system_sgpr_workgroup_info 0
		.amdhsa_system_vgpr_workitem_id 0
		.amdhsa_next_free_vgpr 20
		.amdhsa_next_free_sgpr 41
		.amdhsa_accum_offset 20
		.amdhsa_reserve_vcc 1
		.amdhsa_reserve_flat_scratch 0
		.amdhsa_float_round_mode_32 0
		.amdhsa_float_round_mode_16_64 0
		.amdhsa_float_denorm_mode_32 3
		.amdhsa_float_denorm_mode_16_64 3
		.amdhsa_dx10_clamp 1
		.amdhsa_ieee_mode 1
		.amdhsa_fp16_overflow 0
		.amdhsa_tg_split 0
		.amdhsa_exception_fp_ieee_invalid_op 0
		.amdhsa_exception_fp_denorm_src 0
		.amdhsa_exception_fp_ieee_div_zero 0
		.amdhsa_exception_fp_ieee_overflow 0
		.amdhsa_exception_fp_ieee_underflow 0
		.amdhsa_exception_fp_ieee_inexact 0
		.amdhsa_exception_int_div_zero 0
	.end_amdhsa_kernel
	.section	.text._ZN9rocsparseL12csrsv_kernelILj1024ELj32ELb0ElidEEvT3_NS_24const_host_device_scalarIT4_EEPKT2_PKS1_PKS3_SB_lPS3_PiS9_iPS1_21rocsparse_index_base_20rocsparse_fill_mode_20rocsparse_diag_type_b,"axG",@progbits,_ZN9rocsparseL12csrsv_kernelILj1024ELj32ELb0ElidEEvT3_NS_24const_host_device_scalarIT4_EEPKT2_PKS1_PKS3_SB_lPS3_PiS9_iPS1_21rocsparse_index_base_20rocsparse_fill_mode_20rocsparse_diag_type_b,comdat
.Lfunc_end16:
	.size	_ZN9rocsparseL12csrsv_kernelILj1024ELj32ELb0ElidEEvT3_NS_24const_host_device_scalarIT4_EEPKT2_PKS1_PKS3_SB_lPS3_PiS9_iPS1_21rocsparse_index_base_20rocsparse_fill_mode_20rocsparse_diag_type_b, .Lfunc_end16-_ZN9rocsparseL12csrsv_kernelILj1024ELj32ELb0ElidEEvT3_NS_24const_host_device_scalarIT4_EEPKT2_PKS1_PKS3_SB_lPS3_PiS9_iPS1_21rocsparse_index_base_20rocsparse_fill_mode_20rocsparse_diag_type_b
                                        ; -- End function
	.section	.AMDGPU.csdata,"",@progbits
; Kernel info:
; codeLenInByte = 1488
; NumSgprs: 45
; NumVgprs: 20
; NumAgprs: 0
; TotalNumVgprs: 20
; ScratchSize: 0
; MemoryBound: 0
; FloatMode: 240
; IeeeMode: 1
; LDSByteSize: 256 bytes/workgroup (compile time only)
; SGPRBlocks: 5
; VGPRBlocks: 2
; NumSGPRsForWavesPerEU: 45
; NumVGPRsForWavesPerEU: 20
; AccumOffset: 20
; Occupancy: 8
; WaveLimiterHint : 1
; COMPUTE_PGM_RSRC2:SCRATCH_EN: 0
; COMPUTE_PGM_RSRC2:USER_SGPR: 6
; COMPUTE_PGM_RSRC2:TRAP_HANDLER: 0
; COMPUTE_PGM_RSRC2:TGID_X_EN: 1
; COMPUTE_PGM_RSRC2:TGID_Y_EN: 0
; COMPUTE_PGM_RSRC2:TGID_Z_EN: 0
; COMPUTE_PGM_RSRC2:TIDIG_COMP_CNT: 0
; COMPUTE_PGM_RSRC3_GFX90A:ACCUM_OFFSET: 4
; COMPUTE_PGM_RSRC3_GFX90A:TG_SPLIT: 0
	.section	.text._ZN9rocsparseL12csrsv_kernelILj1024ELj64ELb0ElidEEvT3_NS_24const_host_device_scalarIT4_EEPKT2_PKS1_PKS3_SB_lPS3_PiS9_iPS1_21rocsparse_index_base_20rocsparse_fill_mode_20rocsparse_diag_type_b,"axG",@progbits,_ZN9rocsparseL12csrsv_kernelILj1024ELj64ELb0ElidEEvT3_NS_24const_host_device_scalarIT4_EEPKT2_PKS1_PKS3_SB_lPS3_PiS9_iPS1_21rocsparse_index_base_20rocsparse_fill_mode_20rocsparse_diag_type_b,comdat
	.globl	_ZN9rocsparseL12csrsv_kernelILj1024ELj64ELb0ElidEEvT3_NS_24const_host_device_scalarIT4_EEPKT2_PKS1_PKS3_SB_lPS3_PiS9_iPS1_21rocsparse_index_base_20rocsparse_fill_mode_20rocsparse_diag_type_b ; -- Begin function _ZN9rocsparseL12csrsv_kernelILj1024ELj64ELb0ElidEEvT3_NS_24const_host_device_scalarIT4_EEPKT2_PKS1_PKS3_SB_lPS3_PiS9_iPS1_21rocsparse_index_base_20rocsparse_fill_mode_20rocsparse_diag_type_b
	.p2align	8
	.type	_ZN9rocsparseL12csrsv_kernelILj1024ELj64ELb0ElidEEvT3_NS_24const_host_device_scalarIT4_EEPKT2_PKS1_PKS3_SB_lPS3_PiS9_iPS1_21rocsparse_index_base_20rocsparse_fill_mode_20rocsparse_diag_type_b,@function
_ZN9rocsparseL12csrsv_kernelILj1024ELj64ELb0ElidEEvT3_NS_24const_host_device_scalarIT4_EEPKT2_PKS1_PKS3_SB_lPS3_PiS9_iPS1_21rocsparse_index_base_20rocsparse_fill_mode_20rocsparse_diag_type_b: ; @_ZN9rocsparseL12csrsv_kernelILj1024ELj64ELb0ElidEEvT3_NS_24const_host_device_scalarIT4_EEPKT2_PKS1_PKS3_SB_lPS3_PiS9_iPS1_21rocsparse_index_base_20rocsparse_fill_mode_20rocsparse_diag_type_b
; %bb.0:
	s_load_dwordx4 s[8:11], s[4:5], 0x60
	s_load_dwordx2 s[0:1], s[4:5], 0x8
	s_waitcnt lgkmcnt(0)
	s_bitcmp1_b32 s11, 0
	s_cselect_b64 s[2:3], -1, 0
	s_and_b64 vcc, exec, s[2:3]
	v_pk_mov_b32 v[4:5], s[0:1], s[0:1] op_sel:[0,1]
	s_cbranch_vccnz .LBB17_2
; %bb.1:
	v_pk_mov_b32 v[2:3], s[0:1], s[0:1] op_sel:[0,1]
	flat_load_dwordx2 v[4:5], v[2:3]
.LBB17_2:
	s_load_dword s1, s[4:5], 0x0
	v_lshrrev_b32_e32 v1, 6, v0
	v_readfirstlane_b32 s11, v1
	s_lshl_b32 s0, s6, 4
	s_add_i32 s0, s11, s0
	s_waitcnt lgkmcnt(0)
	s_cmp_ge_i32 s0, s1
	s_cbranch_scc1 .LBB17_46
; %bb.3:
	s_load_dword s1, s[4:5], 0x50
	s_load_dwordx2 s[2:3], s[4:5], 0x48
	v_and_b32_e32 v10, 63, v0
	v_cmp_eq_u32_e32 vcc, 0, v10
	v_pk_mov_b32 v[2:3], 0, 0
	s_waitcnt lgkmcnt(0)
	s_add_i32 s0, s0, s1
	s_ashr_i32 s1, s0, 31
	s_lshl_b64 s[0:1], s[0:1], 2
	s_add_u32 s0, s2, s0
	s_addc_u32 s1, s3, s1
	s_load_dword s6, s[0:1], 0x0
	s_load_dwordx2 s[2:3], s[4:5], 0x10
	s_load_dwordx4 s[12:15], s[4:5], 0x38
	s_waitcnt lgkmcnt(0)
	s_ashr_i32 s7, s6, 31
	s_lshl_b64 s[20:21], s[6:7], 3
	s_add_u32 s0, s2, s20
	s_addc_u32 s1, s3, s21
	s_load_dwordx4 s[0:3], s[0:1], 0x0
	s_and_saveexec_b64 s[16:17], vcc
	s_cbranch_execz .LBB17_5
; %bb.4:
	s_load_dwordx4 s[24:27], s[4:5], 0x28
	s_waitcnt lgkmcnt(0)
	s_mul_i32 s18, s6, s27
	s_mul_hi_u32 s19, s6, s26
	s_mul_i32 s22, s7, s26
	s_add_i32 s18, s19, s18
	s_add_i32 s19, s18, s22
	s_mul_i32 s18, s6, s26
	s_lshl_b64 s[18:19], s[18:19], 3
	s_add_u32 s18, s24, s18
	s_addc_u32 s19, s25, s19
	s_load_dwordx2 s[18:19], s[18:19], 0x0
	s_waitcnt vmcnt(0) lgkmcnt(0)
	v_mul_f64 v[2:3], v[4:5], s[18:19]
.LBB17_5:
	s_or_b64 exec, exec, s[16:17]
	s_waitcnt lgkmcnt(0)
	s_sub_u32 s22, s2, s8
	v_subrev_co_u32_e32 v0, vcc, s8, v10
	s_subb_u32 s23, s3, 0
	v_subb_co_u32_e64 v1, s[2:3], 0, 0, vcc
	s_waitcnt vmcnt(0)
	v_mov_b32_e32 v4, s1
	v_add_co_u32_e32 v0, vcc, s0, v0
	v_addc_co_u32_e32 v1, vcc, v4, v1, vcc
	v_cmp_gt_i64_e32 vcc, s[22:23], v[0:1]
	s_and_saveexec_b64 s[24:25], vcc
	s_cbranch_execz .LBB17_43
; %bb.6:
	s_load_dwordx2 s[26:27], s[4:5], 0x58
	s_load_dwordx4 s[16:19], s[4:5], 0x18
	s_cmp_eq_u32 s10, 0
	s_cselect_b64 s[28:29], -1, 0
	v_cndmask_b32_e64 v4, 0, 1, s[28:29]
	s_add_i32 s33, s6, s8
	s_lshl_b32 s40, s11, 3
	s_mov_b64 s[30:31], 0
	s_waitcnt lgkmcnt(0)
	v_mov_b32_e32 v11, s17
	v_mov_b32_e32 v12, s19
	;; [unrolled: 1-line block ×3, first 2 shown]
	v_cmp_ne_u32_e64 s[0:1], 1, v4
	s_branch .LBB17_8
.LBB17_7:                               ;   in Loop: Header=BB17_8 Depth=1
	s_or_b64 exec, exec, s[34:35]
	s_and_b64 s[2:3], exec, s[2:3]
	s_or_b64 s[30:31], s[2:3], s[30:31]
	v_pk_mov_b32 v[2:3], v[8:9], v[8:9] op_sel:[0,1]
	s_andn2_b64 exec, exec, s[30:31]
	s_cbranch_execz .LBB17_42
.LBB17_8:                               ; =>This Loop Header: Depth=1
                                        ;     Child Loop BB17_33 Depth 2
	v_lshlrev_b64 v[4:5], 2, v[0:1]
	v_add_co_u32_e32 v4, vcc, s16, v4
	v_addc_co_u32_e32 v5, vcc, v11, v5, vcc
	global_load_dword v6, v[4:5], off glc slc
	v_lshlrev_b64 v[4:5], 3, v[0:1]
	v_add_co_u32_e32 v4, vcc, s18, v4
	v_addc_co_u32_e32 v5, vcc, v12, v5, vcc
	global_load_dwordx2 v[4:5], v[4:5], off glc slc
	s_waitcnt vmcnt(1)
	v_subrev_u32_e32 v6, s8, v6
	v_cmp_eq_u32_e32 vcc, s6, v6
	s_and_b64 s[4:5], s[28:29], vcc
	s_waitcnt vmcnt(0)
	v_cmp_eq_f64_e64 s[2:3], 0, v[4:5]
	s_and_b64 s[2:3], s[2:3], s[4:5]
	s_and_saveexec_b64 s[4:5], s[2:3]
	s_cbranch_execz .LBB17_12
; %bb.9:                                ;   in Loop: Header=BB17_8 Depth=1
	v_mbcnt_lo_u32_b32 v4, exec_lo, 0
	v_mbcnt_hi_u32_b32 v4, exec_hi, v4
	v_cmp_eq_u32_e64 s[2:3], 0, v4
	s_and_saveexec_b64 s[34:35], s[2:3]
	s_cbranch_execz .LBB17_11
; %bb.10:                               ;   in Loop: Header=BB17_8 Depth=1
	v_mov_b32_e32 v4, s33
	global_atomic_smin v13, v4, s[26:27]
.LBB17_11:                              ;   in Loop: Header=BB17_8 Depth=1
	s_or_b64 exec, exec, s[34:35]
	v_mov_b32_e32 v4, 0
	v_mov_b32_e32 v5, 0x3ff00000
.LBB17_12:                              ;   in Loop: Header=BB17_8 Depth=1
	s_or_b64 exec, exec, s[4:5]
	v_cmp_ne_u32_e64 s[2:3], s6, v6
	s_cmp_lt_i32 s9, 1
	s_mov_b64 s[34:35], 0
	s_cbranch_scc1 .LBB17_21
; %bb.13:                               ;   in Loop: Header=BB17_8 Depth=1
	s_cmp_eq_u32 s9, 1
	s_cbranch_scc0 .LBB17_22
; %bb.14:                               ;   in Loop: Header=BB17_8 Depth=1
	v_cmp_le_i32_e64 s[4:5], s6, v6
	s_mov_b64 s[36:37], 0
	s_and_saveexec_b64 s[38:39], s[4:5]
	s_cbranch_execz .LBB17_20
; %bb.15:                               ;   in Loop: Header=BB17_8 Depth=1
	s_mov_b64 s[36:37], -1
	s_and_saveexec_b64 s[4:5], vcc
	s_xor_b64 s[4:5], exec, s[4:5]
	s_cbranch_execz .LBB17_19
; %bb.16:                               ;   in Loop: Header=BB17_8 Depth=1
	s_and_b64 vcc, exec, s[0:1]
	s_cbranch_vccnz .LBB17_18
; %bb.17:                               ;   in Loop: Header=BB17_8 Depth=1
	v_div_scale_f64 v[8:9], s[36:37], v[4:5], v[4:5], 1.0
	v_rcp_f64_e32 v[14:15], v[8:9]
	v_div_scale_f64 v[16:17], vcc, 1.0, v[4:5], 1.0
	v_mov_b32_e32 v7, s40
	v_fma_f64 v[18:19], -v[8:9], v[14:15], 1.0
	v_fmac_f64_e32 v[14:15], v[14:15], v[18:19]
	v_fma_f64 v[18:19], -v[8:9], v[14:15], 1.0
	v_fmac_f64_e32 v[14:15], v[14:15], v[18:19]
	v_mul_f64 v[18:19], v[16:17], v[14:15]
	v_fma_f64 v[8:9], -v[8:9], v[18:19], v[16:17]
	v_div_fmas_f64 v[8:9], v[8:9], v[14:15], v[18:19]
	v_div_fixup_f64 v[8:9], v[8:9], v[4:5], 1.0
	ds_write_b64 v7, v[8:9]
.LBB17_18:                              ;   in Loop: Header=BB17_8 Depth=1
	s_xor_b64 s[36:37], exec, -1
.LBB17_19:                              ;   in Loop: Header=BB17_8 Depth=1
	s_or_b64 exec, exec, s[4:5]
	s_and_b64 s[36:37], s[36:37], exec
.LBB17_20:                              ;   in Loop: Header=BB17_8 Depth=1
	s_or_b64 exec, exec, s[38:39]
	s_mov_b32 s17, 4
	v_pk_mov_b32 v[8:9], v[2:3], v[2:3] op_sel:[0,1]
	s_branch .LBB17_23
.LBB17_21:                              ;   in Loop: Header=BB17_8 Depth=1
	s_mov_b64 s[36:37], 0
                                        ; implicit-def: $sgpr17
                                        ; implicit-def: $vgpr8_vgpr9
	s_cbranch_execnz .LBB17_24
	s_branch .LBB17_26
.LBB17_22:                              ;   in Loop: Header=BB17_8 Depth=1
	s_mov_b64 s[36:37], -1
                                        ; implicit-def: $sgpr17
                                        ; implicit-def: $vgpr8_vgpr9
.LBB17_23:                              ;   in Loop: Header=BB17_8 Depth=1
	s_branch .LBB17_26
.LBB17_24:                              ;   in Loop: Header=BB17_8 Depth=1
	s_cmp_eq_u32 s9, 0
	s_cbranch_scc1 .LBB17_28
; %bb.25:                               ;   in Loop: Header=BB17_8 Depth=1
	s_mov_b64 s[36:37], -1
                                        ; implicit-def: $sgpr17
                                        ; implicit-def: $vgpr8_vgpr9
.LBB17_26:                              ;   in Loop: Header=BB17_8 Depth=1
	v_mov_b32_e32 v7, s17
	s_and_saveexec_b64 s[2:3], s[36:37]
	s_cbranch_execnz .LBB17_31
.LBB17_27:                              ;   in Loop: Header=BB17_8 Depth=1
	s_or_b64 exec, exec, s[2:3]
	s_and_saveexec_b64 s[2:3], s[34:35]
	s_cbranch_execnz .LBB17_35
	s_branch .LBB17_38
.LBB17_28:                              ;   in Loop: Header=BB17_8 Depth=1
	v_cmp_ge_i32_e32 vcc, s6, v6
	s_mov_b64 s[36:37], 0
	s_and_saveexec_b64 s[4:5], vcc
; %bb.29:                               ;   in Loop: Header=BB17_8 Depth=1
	s_mov_b64 s[34:35], exec
	s_and_b64 s[36:37], s[2:3], exec
; %bb.30:                               ;   in Loop: Header=BB17_8 Depth=1
	s_or_b64 exec, exec, s[4:5]
	s_mov_b32 s17, 2
	v_pk_mov_b32 v[8:9], v[2:3], v[2:3] op_sel:[0,1]
	v_mov_b32_e32 v7, s17
	s_and_saveexec_b64 s[2:3], s[36:37]
	s_cbranch_execz .LBB17_27
.LBB17_31:                              ;   in Loop: Header=BB17_8 Depth=1
	v_ashrrev_i32_e32 v7, 31, v6
	v_lshlrev_b64 v[8:9], 2, v[6:7]
	v_mov_b32_e32 v14, s15
	v_add_co_u32_e32 v8, vcc, s14, v8
	v_addc_co_u32_e32 v9, vcc, v14, v9, vcc
	global_load_dword v14, v[8:9], off glc
	s_waitcnt vmcnt(0)
	v_cmp_eq_u32_e32 vcc, 0, v14
	s_and_saveexec_b64 s[4:5], vcc
	s_cbranch_execz .LBB17_34
; %bb.32:                               ;   in Loop: Header=BB17_8 Depth=1
	s_mov_b64 s[36:37], 0
.LBB17_33:                              ;   Parent Loop BB17_8 Depth=1
                                        ; =>  This Inner Loop Header: Depth=2
	global_load_dword v14, v[8:9], off glc
	s_waitcnt vmcnt(0)
	v_cmp_ne_u32_e32 vcc, 0, v14
	s_or_b64 s[36:37], vcc, s[36:37]
	s_andn2_b64 exec, exec, s[36:37]
	s_cbranch_execnz .LBB17_33
.LBB17_34:                              ;   in Loop: Header=BB17_8 Depth=1
	s_or_b64 exec, exec, s[4:5]
	v_lshlrev_b64 v[6:7], 3, v[6:7]
	v_mov_b32_e32 v8, s13
	v_add_co_u32_e32 v6, vcc, s12, v6
	v_addc_co_u32_e32 v7, vcc, v8, v7, vcc
	s_waitcnt lgkmcnt(0)
	buffer_wbinvl1_vol
	global_load_dwordx2 v[8:9], v[6:7], off
	v_mov_b32_e32 v7, 0
	s_andn2_b64 s[34:35], s[34:35], exec
	s_waitcnt vmcnt(0)
	v_fma_f64 v[8:9], -v[4:5], v[8:9], v[2:3]
	s_or_b64 exec, exec, s[2:3]
	s_and_saveexec_b64 s[2:3], s[34:35]
	s_cbranch_execz .LBB17_38
.LBB17_35:                              ;   in Loop: Header=BB17_8 Depth=1
	s_and_b64 vcc, exec, s[0:1]
	s_cbranch_vccnz .LBB17_37
; %bb.36:                               ;   in Loop: Header=BB17_8 Depth=1
	v_div_scale_f64 v[6:7], s[4:5], v[4:5], v[4:5], 1.0
	v_rcp_f64_e32 v[8:9], v[6:7]
	v_div_scale_f64 v[14:15], vcc, 1.0, v[4:5], 1.0
	v_fma_f64 v[16:17], -v[6:7], v[8:9], 1.0
	v_fmac_f64_e32 v[8:9], v[8:9], v[16:17]
	v_fma_f64 v[16:17], -v[6:7], v[8:9], 1.0
	v_fmac_f64_e32 v[8:9], v[8:9], v[16:17]
	v_mul_f64 v[16:17], v[14:15], v[8:9]
	v_fma_f64 v[6:7], -v[6:7], v[16:17], v[14:15]
	v_div_fmas_f64 v[6:7], v[6:7], v[8:9], v[16:17]
	v_div_fixup_f64 v[4:5], v[6:7], v[4:5], 1.0
	v_mov_b32_e32 v6, s40
	ds_write_b64 v6, v[4:5]
.LBB17_37:                              ;   in Loop: Header=BB17_8 Depth=1
	v_mov_b32_e32 v7, 2
	v_pk_mov_b32 v[8:9], v[2:3], v[2:3] op_sel:[0,1]
.LBB17_38:                              ;   in Loop: Header=BB17_8 Depth=1
	s_or_b64 exec, exec, s[2:3]
	v_cmp_gt_i32_e32 vcc, 4, v7
	s_mov_b64 s[2:3], -1
	s_mov_b64 s[4:5], -1
	s_and_saveexec_b64 s[34:35], vcc
; %bb.39:                               ;   in Loop: Header=BB17_8 Depth=1
	v_cmp_eq_u32_e32 vcc, 0, v7
	s_orn2_b64 s[4:5], vcc, exec
; %bb.40:                               ;   in Loop: Header=BB17_8 Depth=1
	s_or_b64 exec, exec, s[34:35]
	s_and_saveexec_b64 s[34:35], s[4:5]
	s_cbranch_execz .LBB17_7
; %bb.41:                               ;   in Loop: Header=BB17_8 Depth=1
	v_add_co_u32_e32 v0, vcc, 64, v0
	v_addc_co_u32_e32 v1, vcc, 0, v1, vcc
	v_cmp_le_i64_e32 vcc, s[22:23], v[0:1]
	s_orn2_b64 s[2:3], vcc, exec
	s_branch .LBB17_7
.LBB17_42:
	s_or_b64 exec, exec, s[30:31]
	v_pk_mov_b32 v[2:3], v[8:9], v[8:9] op_sel:[0,1]
.LBB17_43:
	s_or_b64 exec, exec, s[24:25]
	s_nop 0
	v_mov_b32_dpp v0, v2 row_shr:1 row_mask:0xf bank_mask:0xf
	v_mov_b32_dpp v1, v3 row_shr:1 row_mask:0xf bank_mask:0xf
	v_add_f64 v[0:1], v[2:3], v[0:1]
	s_cmp_lg_u32 s10, 0
	s_nop 0
	v_mov_b32_dpp v2, v0 row_shr:2 row_mask:0xf bank_mask:0xf
	v_mov_b32_dpp v3, v1 row_shr:2 row_mask:0xf bank_mask:0xf
	v_add_f64 v[0:1], v[0:1], v[2:3]
	s_nop 1
	v_mov_b32_dpp v2, v0 row_shr:4 row_mask:0xf bank_mask:0xe
	v_mov_b32_dpp v3, v1 row_shr:4 row_mask:0xf bank_mask:0xe
	v_add_f64 v[0:1], v[0:1], v[2:3]
	;; [unrolled: 4-line block ×3, first 2 shown]
	s_nop 1
	v_mov_b32_dpp v2, v0 row_bcast:15 row_mask:0xa bank_mask:0xf
	v_mov_b32_dpp v3, v1 row_bcast:15 row_mask:0xa bank_mask:0xf
	v_add_f64 v[0:1], v[0:1], v[2:3]
	s_nop 1
	v_mov_b32_dpp v2, v0 row_bcast:31 row_mask:0xc bank_mask:0xf
	v_mov_b32_dpp v3, v1 row_bcast:31 row_mask:0xc bank_mask:0xf
	v_add_f64 v[0:1], v[0:1], v[2:3]
	s_cbranch_scc0 .LBB17_47
; %bb.44:
	v_cmp_eq_u32_e32 vcc, 63, v10
	s_and_saveexec_b64 s[0:1], vcc
	s_cbranch_execz .LBB17_46
.LBB17_45:
	s_add_u32 s0, s12, s20
	s_addc_u32 s1, s13, s21
	s_lshl_b64 s[2:3], s[6:7], 2
	v_mov_b32_e32 v2, 0
	s_add_u32 s2, s14, s2
	s_addc_u32 s3, s15, s3
	global_store_dwordx2 v2, v[0:1], s[0:1] glc slc
	v_mov_b32_e32 v0, 1
	s_waitcnt vmcnt(0)
	global_store_dword v2, v0, s[2:3]
.LBB17_46:
	s_endpgm
.LBB17_47:
	s_lshl_b32 s0, s11, 3
	v_mov_b32_e32 v2, s0
	s_waitcnt lgkmcnt(0)
	ds_read_b64 v[2:3], v2
	s_waitcnt lgkmcnt(0)
	v_mul_f64 v[0:1], v[0:1], v[2:3]
	v_cmp_eq_u32_e32 vcc, 63, v10
	s_and_saveexec_b64 s[0:1], vcc
	s_cbranch_execnz .LBB17_45
	s_branch .LBB17_46
	.section	.rodata,"a",@progbits
	.p2align	6, 0x0
	.amdhsa_kernel _ZN9rocsparseL12csrsv_kernelILj1024ELj64ELb0ElidEEvT3_NS_24const_host_device_scalarIT4_EEPKT2_PKS1_PKS3_SB_lPS3_PiS9_iPS1_21rocsparse_index_base_20rocsparse_fill_mode_20rocsparse_diag_type_b
		.amdhsa_group_segment_fixed_size 128
		.amdhsa_private_segment_fixed_size 0
		.amdhsa_kernarg_size 112
		.amdhsa_user_sgpr_count 6
		.amdhsa_user_sgpr_private_segment_buffer 1
		.amdhsa_user_sgpr_dispatch_ptr 0
		.amdhsa_user_sgpr_queue_ptr 0
		.amdhsa_user_sgpr_kernarg_segment_ptr 1
		.amdhsa_user_sgpr_dispatch_id 0
		.amdhsa_user_sgpr_flat_scratch_init 0
		.amdhsa_user_sgpr_kernarg_preload_length 0
		.amdhsa_user_sgpr_kernarg_preload_offset 0
		.amdhsa_user_sgpr_private_segment_size 0
		.amdhsa_uses_dynamic_stack 0
		.amdhsa_system_sgpr_private_segment_wavefront_offset 0
		.amdhsa_system_sgpr_workgroup_id_x 1
		.amdhsa_system_sgpr_workgroup_id_y 0
		.amdhsa_system_sgpr_workgroup_id_z 0
		.amdhsa_system_sgpr_workgroup_info 0
		.amdhsa_system_vgpr_workitem_id 0
		.amdhsa_next_free_vgpr 20
		.amdhsa_next_free_sgpr 41
		.amdhsa_accum_offset 20
		.amdhsa_reserve_vcc 1
		.amdhsa_reserve_flat_scratch 0
		.amdhsa_float_round_mode_32 0
		.amdhsa_float_round_mode_16_64 0
		.amdhsa_float_denorm_mode_32 3
		.amdhsa_float_denorm_mode_16_64 3
		.amdhsa_dx10_clamp 1
		.amdhsa_ieee_mode 1
		.amdhsa_fp16_overflow 0
		.amdhsa_tg_split 0
		.amdhsa_exception_fp_ieee_invalid_op 0
		.amdhsa_exception_fp_denorm_src 0
		.amdhsa_exception_fp_ieee_div_zero 0
		.amdhsa_exception_fp_ieee_overflow 0
		.amdhsa_exception_fp_ieee_underflow 0
		.amdhsa_exception_fp_ieee_inexact 0
		.amdhsa_exception_int_div_zero 0
	.end_amdhsa_kernel
	.section	.text._ZN9rocsparseL12csrsv_kernelILj1024ELj64ELb0ElidEEvT3_NS_24const_host_device_scalarIT4_EEPKT2_PKS1_PKS3_SB_lPS3_PiS9_iPS1_21rocsparse_index_base_20rocsparse_fill_mode_20rocsparse_diag_type_b,"axG",@progbits,_ZN9rocsparseL12csrsv_kernelILj1024ELj64ELb0ElidEEvT3_NS_24const_host_device_scalarIT4_EEPKT2_PKS1_PKS3_SB_lPS3_PiS9_iPS1_21rocsparse_index_base_20rocsparse_fill_mode_20rocsparse_diag_type_b,comdat
.Lfunc_end17:
	.size	_ZN9rocsparseL12csrsv_kernelILj1024ELj64ELb0ElidEEvT3_NS_24const_host_device_scalarIT4_EEPKT2_PKS1_PKS3_SB_lPS3_PiS9_iPS1_21rocsparse_index_base_20rocsparse_fill_mode_20rocsparse_diag_type_b, .Lfunc_end17-_ZN9rocsparseL12csrsv_kernelILj1024ELj64ELb0ElidEEvT3_NS_24const_host_device_scalarIT4_EEPKT2_PKS1_PKS3_SB_lPS3_PiS9_iPS1_21rocsparse_index_base_20rocsparse_fill_mode_20rocsparse_diag_type_b
                                        ; -- End function
	.section	.AMDGPU.csdata,"",@progbits
; Kernel info:
; codeLenInByte = 1516
; NumSgprs: 45
; NumVgprs: 20
; NumAgprs: 0
; TotalNumVgprs: 20
; ScratchSize: 0
; MemoryBound: 0
; FloatMode: 240
; IeeeMode: 1
; LDSByteSize: 128 bytes/workgroup (compile time only)
; SGPRBlocks: 5
; VGPRBlocks: 2
; NumSGPRsForWavesPerEU: 45
; NumVGPRsForWavesPerEU: 20
; AccumOffset: 20
; Occupancy: 8
; WaveLimiterHint : 1
; COMPUTE_PGM_RSRC2:SCRATCH_EN: 0
; COMPUTE_PGM_RSRC2:USER_SGPR: 6
; COMPUTE_PGM_RSRC2:TRAP_HANDLER: 0
; COMPUTE_PGM_RSRC2:TGID_X_EN: 1
; COMPUTE_PGM_RSRC2:TGID_Y_EN: 0
; COMPUTE_PGM_RSRC2:TGID_Z_EN: 0
; COMPUTE_PGM_RSRC2:TIDIG_COMP_CNT: 0
; COMPUTE_PGM_RSRC3_GFX90A:ACCUM_OFFSET: 4
; COMPUTE_PGM_RSRC3_GFX90A:TG_SPLIT: 0
	.section	.text._ZN9rocsparseL12csrsv_kernelILj1024ELj64ELb1Eli21rocsparse_complex_numIfEEEvT3_NS_24const_host_device_scalarIT4_EEPKT2_PKS3_PKS5_SD_lPS5_PiSB_iPS3_21rocsparse_index_base_20rocsparse_fill_mode_20rocsparse_diag_type_b,"axG",@progbits,_ZN9rocsparseL12csrsv_kernelILj1024ELj64ELb1Eli21rocsparse_complex_numIfEEEvT3_NS_24const_host_device_scalarIT4_EEPKT2_PKS3_PKS5_SD_lPS5_PiSB_iPS3_21rocsparse_index_base_20rocsparse_fill_mode_20rocsparse_diag_type_b,comdat
	.globl	_ZN9rocsparseL12csrsv_kernelILj1024ELj64ELb1Eli21rocsparse_complex_numIfEEEvT3_NS_24const_host_device_scalarIT4_EEPKT2_PKS3_PKS5_SD_lPS5_PiSB_iPS3_21rocsparse_index_base_20rocsparse_fill_mode_20rocsparse_diag_type_b ; -- Begin function _ZN9rocsparseL12csrsv_kernelILj1024ELj64ELb1Eli21rocsparse_complex_numIfEEEvT3_NS_24const_host_device_scalarIT4_EEPKT2_PKS3_PKS5_SD_lPS5_PiSB_iPS3_21rocsparse_index_base_20rocsparse_fill_mode_20rocsparse_diag_type_b
	.p2align	8
	.type	_ZN9rocsparseL12csrsv_kernelILj1024ELj64ELb1Eli21rocsparse_complex_numIfEEEvT3_NS_24const_host_device_scalarIT4_EEPKT2_PKS3_PKS5_SD_lPS5_PiSB_iPS3_21rocsparse_index_base_20rocsparse_fill_mode_20rocsparse_diag_type_b,@function
_ZN9rocsparseL12csrsv_kernelILj1024ELj64ELb1Eli21rocsparse_complex_numIfEEEvT3_NS_24const_host_device_scalarIT4_EEPKT2_PKS3_PKS5_SD_lPS5_PiSB_iPS3_21rocsparse_index_base_20rocsparse_fill_mode_20rocsparse_diag_type_b: ; @_ZN9rocsparseL12csrsv_kernelILj1024ELj64ELb1Eli21rocsparse_complex_numIfEEEvT3_NS_24const_host_device_scalarIT4_EEPKT2_PKS3_PKS5_SD_lPS5_PiSB_iPS3_21rocsparse_index_base_20rocsparse_fill_mode_20rocsparse_diag_type_b
; %bb.0:
	s_load_dwordx4 s[8:11], s[4:5], 0x60
	s_load_dwordx2 s[16:17], s[4:5], 0x8
	s_waitcnt lgkmcnt(0)
	s_bitcmp1_b32 s11, 0
	s_cselect_b64 s[2:3], -1, 0
	s_xor_b64 s[0:1], s[2:3], -1
	s_and_b64 vcc, exec, s[2:3]
	s_mov_b32 s18, s16
	s_cbranch_vccnz .LBB18_2
; %bb.1:
	s_load_dword s18, s[16:17], 0x0
.LBB18_2:
	s_andn2_b64 vcc, exec, s[0:1]
	s_cbranch_vccnz .LBB18_4
; %bb.3:
	s_load_dword s17, s[16:17], 0x4
.LBB18_4:
	s_nop 0
	s_load_dword s1, s[4:5], 0x0
	v_lshrrev_b32_e32 v1, 6, v0
	v_readfirstlane_b32 s11, v1
	s_lshl_b32 s0, s6, 4
	s_add_i32 s0, s11, s0
	s_waitcnt lgkmcnt(0)
	s_cmp_ge_i32 s0, s1
	s_cbranch_scc1 .LBB18_50
; %bb.5:
	s_load_dword s1, s[4:5], 0x50
	s_load_dwordx2 s[2:3], s[4:5], 0x48
	s_mov_b32 s22, 0
	v_and_b32_e32 v10, 63, v0
	s_mov_b32 s23, s22
	s_waitcnt lgkmcnt(0)
	s_add_i32 s0, s0, s1
	s_ashr_i32 s1, s0, 31
	s_lshl_b64 s[0:1], s[0:1], 2
	s_add_u32 s0, s2, s0
	s_addc_u32 s1, s3, s1
	s_load_dword s6, s[0:1], 0x0
	s_load_dwordx2 s[2:3], s[4:5], 0x10
	s_load_dwordx4 s[12:15], s[4:5], 0x38
	v_cmp_eq_u32_e32 vcc, 0, v10
	v_pk_mov_b32 v[2:3], s[22:23], s[22:23] op_sel:[0,1]
	s_waitcnt lgkmcnt(0)
	s_ashr_i32 s7, s6, 31
	s_lshl_b64 s[20:21], s[6:7], 3
	s_add_u32 s0, s2, s20
	s_addc_u32 s1, s3, s21
	s_load_dwordx4 s[0:3], s[0:1], 0x0
	s_and_saveexec_b64 s[22:23], vcc
	s_cbranch_execz .LBB18_7
; %bb.6:
	s_load_dwordx4 s[24:27], s[4:5], 0x28
	v_mov_b32_e32 v1, s18
	s_waitcnt lgkmcnt(0)
	s_mul_i32 s16, s6, s27
	s_mul_hi_u32 s19, s6, s26
	s_mul_i32 s27, s7, s26
	s_add_i32 s16, s19, s16
	s_mul_i32 s26, s6, s26
	s_add_i32 s27, s16, s27
	s_lshl_b64 s[26:27], s[26:27], 3
	s_add_u32 s24, s24, s26
	s_addc_u32 s25, s25, s27
	s_load_dwordx2 s[24:25], s[24:25], 0x0
	s_xor_b32 s16, s17, 0x80000000
	v_mov_b32_e32 v0, s16
	s_mov_b32 s19, s17
	s_waitcnt lgkmcnt(0)
	v_pk_mul_f32 v[0:1], s[24:25], v[0:1] op_sel:[1,0]
	v_pk_mov_b32 v[2:3], s[24:25], s[24:25] op_sel:[0,1]
	v_pk_fma_f32 v[2:3], s[18:19], v[2:3], v[0:1] op_sel_hi:[1,0,1]
.LBB18_7:
	s_or_b64 exec, exec, s[22:23]
	s_waitcnt lgkmcnt(0)
	s_sub_u32 s22, s2, s8
	v_subrev_co_u32_e32 v0, vcc, s8, v10
	s_subb_u32 s23, s3, 0
	v_subb_co_u32_e64 v1, s[2:3], 0, 0, vcc
	v_mov_b32_e32 v4, s1
	v_add_co_u32_e32 v0, vcc, s0, v0
	v_addc_co_u32_e32 v1, vcc, v4, v1, vcc
	v_cmp_gt_i64_e32 vcc, s[22:23], v[0:1]
	s_and_saveexec_b64 s[24:25], vcc
	s_cbranch_execz .LBB18_47
; %bb.8:
	s_load_dwordx2 s[26:27], s[4:5], 0x58
	s_load_dwordx4 s[16:19], s[4:5], 0x18
	s_cmp_eq_u32 s10, 0
	s_cselect_b64 s[28:29], -1, 0
	v_cndmask_b32_e64 v4, 0, 1, s[28:29]
	s_add_i32 s33, s6, s8
	s_lshl_b32 s40, s11, 3
	s_mov_b64 s[30:31], 0
	s_waitcnt lgkmcnt(0)
	v_mov_b32_e32 v11, s17
	v_mov_b32_e32 v12, s19
	;; [unrolled: 1-line block ×3, first 2 shown]
	v_cmp_ne_u32_e64 s[0:1], 1, v4
	s_branch .LBB18_10
.LBB18_9:                               ;   in Loop: Header=BB18_10 Depth=1
	s_or_b64 exec, exec, s[34:35]
	s_and_b64 s[2:3], exec, s[2:3]
	s_or_b64 s[30:31], s[2:3], s[30:31]
	v_pk_mov_b32 v[2:3], v[8:9], v[8:9] op_sel:[0,1]
	s_andn2_b64 exec, exec, s[30:31]
	s_cbranch_execz .LBB18_46
.LBB18_10:                              ; =>This Loop Header: Depth=1
                                        ;     Child Loop BB18_36 Depth 2
                                        ;       Child Loop BB18_37 Depth 3
	v_lshlrev_b64 v[4:5], 2, v[0:1]
	v_add_co_u32_e32 v4, vcc, s16, v4
	v_addc_co_u32_e32 v5, vcc, v11, v5, vcc
	global_load_dword v6, v[4:5], off glc slc
	v_lshlrev_b64 v[4:5], 3, v[0:1]
	v_add_co_u32_e32 v4, vcc, s18, v4
	v_addc_co_u32_e32 v5, vcc, v12, v5, vcc
	global_load_dwordx2 v[4:5], v[4:5], off glc slc
	s_waitcnt vmcnt(1)
	v_subrev_u32_e32 v6, s8, v6
	s_waitcnt vmcnt(0)
	v_cmp_eq_f32_e32 vcc, 0, v4
	v_cmp_eq_f32_e64 s[2:3], 0, v5
	s_and_b64 s[2:3], vcc, s[2:3]
	v_cmp_eq_u32_e32 vcc, s6, v6
	s_and_b64 s[2:3], s[2:3], vcc
	s_and_b64 s[2:3], s[28:29], s[2:3]
	s_and_saveexec_b64 s[4:5], s[2:3]
	s_cbranch_execz .LBB18_14
; %bb.11:                               ;   in Loop: Header=BB18_10 Depth=1
	v_mbcnt_lo_u32_b32 v4, exec_lo, 0
	v_mbcnt_hi_u32_b32 v4, exec_hi, v4
	v_cmp_eq_u32_e64 s[2:3], 0, v4
	s_and_saveexec_b64 s[34:35], s[2:3]
	s_cbranch_execz .LBB18_13
; %bb.12:                               ;   in Loop: Header=BB18_10 Depth=1
	v_mov_b32_e32 v4, s33
	global_atomic_smin v13, v4, s[26:27]
.LBB18_13:                              ;   in Loop: Header=BB18_10 Depth=1
	s_or_b64 exec, exec, s[34:35]
	v_mov_b32_e32 v4, 1.0
	v_mov_b32_e32 v5, 0
.LBB18_14:                              ;   in Loop: Header=BB18_10 Depth=1
	s_or_b64 exec, exec, s[4:5]
	v_cmp_ne_u32_e64 s[2:3], s6, v6
	s_cmp_lt_i32 s9, 1
	s_mov_b64 s[34:35], 0
	s_cbranch_scc1 .LBB18_23
; %bb.15:                               ;   in Loop: Header=BB18_10 Depth=1
	s_cmp_eq_u32 s9, 1
	s_cbranch_scc0 .LBB18_24
; %bb.16:                               ;   in Loop: Header=BB18_10 Depth=1
	v_cmp_le_i32_e64 s[4:5], s6, v6
	s_mov_b64 s[36:37], 0
	s_and_saveexec_b64 s[38:39], s[4:5]
	s_cbranch_execz .LBB18_22
; %bb.17:                               ;   in Loop: Header=BB18_10 Depth=1
	s_mov_b64 s[36:37], -1
	s_and_saveexec_b64 s[4:5], vcc
	s_xor_b64 s[4:5], exec, s[4:5]
	s_cbranch_execz .LBB18_21
; %bb.18:                               ;   in Loop: Header=BB18_10 Depth=1
	s_and_b64 vcc, exec, s[0:1]
	s_cbranch_vccnz .LBB18_20
; %bb.19:                               ;   in Loop: Header=BB18_10 Depth=1
	v_mul_f32_e32 v7, v5, v5
	v_fmac_f32_e32 v7, v4, v4
	v_div_scale_f32 v8, s[36:37], v7, v7, 1.0
	v_rcp_f32_e32 v9, v8
	v_div_scale_f32 v14, vcc, 1.0, v7, 1.0
	v_fma_f32 v15, -v8, v9, 1.0
	v_fmac_f32_e32 v9, v15, v9
	v_mul_f32_e32 v15, v14, v9
	v_fma_f32 v16, -v8, v15, v14
	v_fmac_f32_e32 v15, v16, v9
	v_fma_f32 v8, -v8, v15, v14
	v_div_fmas_f32 v8, v8, v9, v15
	v_div_fixup_f32 v8, v8, v7, 1.0
	v_fma_f32 v14, 0, v5, v4
	v_fma_f32 v15, v4, 0, -v5
	v_pk_mul_f32 v[8:9], v[14:15], v[8:9] op_sel_hi:[1,0]
	v_mov_b32_e32 v7, s40
	ds_write_b64 v7, v[8:9]
.LBB18_20:                              ;   in Loop: Header=BB18_10 Depth=1
	s_xor_b64 s[36:37], exec, -1
.LBB18_21:                              ;   in Loop: Header=BB18_10 Depth=1
	s_or_b64 exec, exec, s[4:5]
	s_and_b64 s[36:37], s[36:37], exec
.LBB18_22:                              ;   in Loop: Header=BB18_10 Depth=1
	s_or_b64 exec, exec, s[38:39]
	s_mov_b32 s17, 4
	v_pk_mov_b32 v[8:9], v[2:3], v[2:3] op_sel:[0,1]
	s_branch .LBB18_25
.LBB18_23:                              ;   in Loop: Header=BB18_10 Depth=1
	s_mov_b64 s[36:37], 0
                                        ; implicit-def: $vgpr8_vgpr9
                                        ; implicit-def: $sgpr17
	s_cbranch_execnz .LBB18_26
	s_branch .LBB18_28
.LBB18_24:                              ;   in Loop: Header=BB18_10 Depth=1
	s_mov_b64 s[36:37], -1
                                        ; implicit-def: $vgpr8_vgpr9
                                        ; implicit-def: $sgpr17
.LBB18_25:                              ;   in Loop: Header=BB18_10 Depth=1
	s_branch .LBB18_28
.LBB18_26:                              ;   in Loop: Header=BB18_10 Depth=1
	s_cmp_eq_u32 s9, 0
	s_cbranch_scc1 .LBB18_30
; %bb.27:                               ;   in Loop: Header=BB18_10 Depth=1
	s_mov_b64 s[36:37], -1
                                        ; implicit-def: $vgpr8_vgpr9
                                        ; implicit-def: $sgpr17
.LBB18_28:                              ;   in Loop: Header=BB18_10 Depth=1
	v_mov_b32_e32 v7, s17
	s_and_saveexec_b64 s[2:3], s[36:37]
	s_cbranch_execnz .LBB18_33
.LBB18_29:                              ;   in Loop: Header=BB18_10 Depth=1
	s_or_b64 exec, exec, s[2:3]
	s_and_saveexec_b64 s[2:3], s[34:35]
	s_cbranch_execnz .LBB18_39
	s_branch .LBB18_42
.LBB18_30:                              ;   in Loop: Header=BB18_10 Depth=1
	v_cmp_ge_i32_e32 vcc, s6, v6
	s_mov_b64 s[36:37], 0
	s_and_saveexec_b64 s[4:5], vcc
; %bb.31:                               ;   in Loop: Header=BB18_10 Depth=1
	s_mov_b64 s[34:35], exec
	s_and_b64 s[36:37], s[2:3], exec
; %bb.32:                               ;   in Loop: Header=BB18_10 Depth=1
	s_or_b64 exec, exec, s[4:5]
	s_mov_b32 s17, 2
	v_pk_mov_b32 v[8:9], v[2:3], v[2:3] op_sel:[0,1]
	v_mov_b32_e32 v7, s17
	s_and_saveexec_b64 s[2:3], s[36:37]
	s_cbranch_execz .LBB18_29
.LBB18_33:                              ;   in Loop: Header=BB18_10 Depth=1
	v_ashrrev_i32_e32 v7, 31, v6
	v_lshlrev_b64 v[8:9], 2, v[6:7]
	v_mov_b32_e32 v14, s15
	v_add_co_u32_e32 v8, vcc, s14, v8
	v_addc_co_u32_e32 v9, vcc, v14, v9, vcc
	global_load_dword v14, v[8:9], off glc
	s_waitcnt vmcnt(0)
	v_cmp_eq_u32_e32 vcc, 0, v14
	s_and_saveexec_b64 s[4:5], vcc
	s_cbranch_execz .LBB18_38
; %bb.34:                               ;   in Loop: Header=BB18_10 Depth=1
	s_mov_b32 s17, 0
	s_mov_b64 s[36:37], 0
	s_branch .LBB18_36
.LBB18_35:                              ;   in Loop: Header=BB18_36 Depth=2
	global_load_dword v14, v[8:9], off glc
	s_cmpk_lt_u32 s17, 0xf43
	s_cselect_b64 s[38:39], -1, 0
	s_cmp_lg_u64 s[38:39], 0
	s_addc_u32 s17, s17, 0
	s_waitcnt vmcnt(0)
	v_cmp_ne_u32_e32 vcc, 0, v14
	s_or_b64 s[36:37], vcc, s[36:37]
	s_andn2_b64 exec, exec, s[36:37]
	s_cbranch_execz .LBB18_38
.LBB18_36:                              ;   Parent Loop BB18_10 Depth=1
                                        ; =>  This Loop Header: Depth=2
                                        ;       Child Loop BB18_37 Depth 3
	s_cmp_eq_u32 s17, 0
	s_mov_b32 s19, s17
	s_cbranch_scc1 .LBB18_35
.LBB18_37:                              ;   Parent Loop BB18_10 Depth=1
                                        ;     Parent Loop BB18_36 Depth=2
                                        ; =>    This Inner Loop Header: Depth=3
	s_add_i32 s19, s19, -1
	s_cmp_eq_u32 s19, 0
	s_sleep 1
	s_cbranch_scc0 .LBB18_37
	s_branch .LBB18_35
.LBB18_38:                              ;   in Loop: Header=BB18_10 Depth=1
	s_or_b64 exec, exec, s[4:5]
	v_lshlrev_b64 v[6:7], 3, v[6:7]
	v_mov_b32_e32 v8, s13
	v_add_co_u32_e32 v6, vcc, s12, v6
	v_addc_co_u32_e32 v7, vcc, v8, v7, vcc
	s_waitcnt lgkmcnt(0)
	buffer_wbinvl1_vol
	global_load_dwordx2 v[8:9], v[6:7], off
	v_mov_b32_e32 v7, 0
	s_andn2_b64 s[34:35], s[34:35], exec
	s_waitcnt vmcnt(0)
	v_pk_fma_f32 v[14:15], v[4:5], v[8:9], v[2:3] op_sel_hi:[1,0,1] neg_lo:[1,0,0] neg_hi:[1,0,0]
	v_pk_fma_f32 v[8:9], v[4:5], v[8:9], v[14:15] op_sel:[1,1,0] op_sel_hi:[0,1,1] neg_hi:[1,0,0]
	s_or_b64 exec, exec, s[2:3]
	s_and_saveexec_b64 s[2:3], s[34:35]
	s_cbranch_execz .LBB18_42
.LBB18_39:                              ;   in Loop: Header=BB18_10 Depth=1
	s_and_b64 vcc, exec, s[0:1]
	s_cbranch_vccnz .LBB18_41
; %bb.40:                               ;   in Loop: Header=BB18_10 Depth=1
	v_mul_f32_e32 v6, v5, v5
	v_fmac_f32_e32 v6, v4, v4
	v_div_scale_f32 v7, s[4:5], v6, v6, 1.0
	v_rcp_f32_e32 v8, v7
	v_div_scale_f32 v9, vcc, 1.0, v6, 1.0
	v_fma_f32 v14, -v7, v8, 1.0
	v_fmac_f32_e32 v8, v14, v8
	v_mul_f32_e32 v14, v9, v8
	v_fma_f32 v15, -v7, v14, v9
	v_fmac_f32_e32 v14, v15, v8
	v_fma_f32 v7, -v7, v14, v9
	v_div_fmas_f32 v7, v7, v8, v14
	v_div_fixup_f32 v6, v7, v6, 1.0
	v_fma_f32 v8, 0, v5, v4
	v_fma_f32 v9, v4, 0, -v5
	v_pk_mul_f32 v[4:5], v[8:9], v[6:7] op_sel_hi:[1,0]
	v_mov_b32_e32 v6, s40
	ds_write_b64 v6, v[4:5]
.LBB18_41:                              ;   in Loop: Header=BB18_10 Depth=1
	v_mov_b32_e32 v7, 2
	v_pk_mov_b32 v[8:9], v[2:3], v[2:3] op_sel:[0,1]
.LBB18_42:                              ;   in Loop: Header=BB18_10 Depth=1
	s_or_b64 exec, exec, s[2:3]
	v_cmp_gt_i32_e32 vcc, 4, v7
	s_mov_b64 s[2:3], -1
	s_mov_b64 s[4:5], -1
	s_and_saveexec_b64 s[34:35], vcc
; %bb.43:                               ;   in Loop: Header=BB18_10 Depth=1
	v_cmp_eq_u32_e32 vcc, 0, v7
	s_orn2_b64 s[4:5], vcc, exec
; %bb.44:                               ;   in Loop: Header=BB18_10 Depth=1
	s_or_b64 exec, exec, s[34:35]
	s_and_saveexec_b64 s[34:35], s[4:5]
	s_cbranch_execz .LBB18_9
; %bb.45:                               ;   in Loop: Header=BB18_10 Depth=1
	v_add_co_u32_e32 v0, vcc, 64, v0
	v_addc_co_u32_e32 v1, vcc, 0, v1, vcc
	v_cmp_le_i64_e32 vcc, s[22:23], v[0:1]
	s_orn2_b64 s[2:3], vcc, exec
	s_branch .LBB18_9
.LBB18_46:
	s_or_b64 exec, exec, s[30:31]
	v_pk_mov_b32 v[2:3], v[8:9], v[8:9] op_sel:[0,1]
.LBB18_47:
	s_or_b64 exec, exec, s[24:25]
	s_nop 0
	v_mov_b32_dpp v0, v2 row_shr:1 row_mask:0xf bank_mask:0xf
	v_mov_b32_dpp v1, v3 row_shr:1 row_mask:0xf bank_mask:0xf
	v_pk_add_f32 v[0:1], v[2:3], v[0:1]
	s_cmp_lg_u32 s10, 0
	s_nop 0
	v_mov_b32_dpp v2, v0 row_shr:2 row_mask:0xf bank_mask:0xf
	v_mov_b32_dpp v3, v1 row_shr:2 row_mask:0xf bank_mask:0xf
	v_pk_add_f32 v[0:1], v[0:1], v[2:3]
	s_nop 1
	v_mov_b32_dpp v2, v0 row_shr:4 row_mask:0xf bank_mask:0xe
	v_mov_b32_dpp v3, v1 row_shr:4 row_mask:0xf bank_mask:0xe
	v_pk_add_f32 v[0:1], v[0:1], v[2:3]
	;; [unrolled: 4-line block ×3, first 2 shown]
	s_nop 1
	v_mov_b32_dpp v2, v0 row_bcast:15 row_mask:0xa bank_mask:0xf
	v_mov_b32_dpp v3, v1 row_bcast:15 row_mask:0xa bank_mask:0xf
	v_pk_add_f32 v[0:1], v[0:1], v[2:3]
	s_nop 1
	v_mov_b32_dpp v2, v0 row_bcast:31 row_mask:0xc bank_mask:0xf
	v_mov_b32_dpp v3, v1 row_bcast:31 row_mask:0xc bank_mask:0xf
	v_pk_add_f32 v[0:1], v[0:1], v[2:3]
	s_cbranch_scc0 .LBB18_51
; %bb.48:
	v_cmp_eq_u32_e32 vcc, 63, v10
	s_and_saveexec_b64 s[0:1], vcc
	s_cbranch_execz .LBB18_50
.LBB18_49:
	s_add_u32 s0, s12, s20
	s_addc_u32 s1, s13, s21
	s_lshl_b64 s[2:3], s[6:7], 2
	v_mov_b32_e32 v2, 0
	s_add_u32 s2, s14, s2
	s_addc_u32 s3, s15, s3
	global_store_dwordx2 v2, v[0:1], s[0:1] glc slc
	v_mov_b32_e32 v0, 1
	s_waitcnt vmcnt(0)
	global_store_dword v2, v0, s[2:3]
.LBB18_50:
	s_endpgm
.LBB18_51:
	s_lshl_b32 s0, s11, 3
	v_mov_b32_e32 v2, s0
	s_waitcnt lgkmcnt(0)
	ds_read_b64 v[2:3], v2
	s_waitcnt lgkmcnt(0)
	v_pk_mul_f32 v[4:5], v[2:3], v[0:1] op_sel:[1,1] op_sel_hi:[1,0] neg_lo:[0,1]
	v_pk_fma_f32 v[0:1], v[0:1], v[2:3], v[4:5] op_sel_hi:[1,0,1]
	v_cmp_eq_u32_e32 vcc, 63, v10
	s_and_saveexec_b64 s[0:1], vcc
	s_cbranch_execnz .LBB18_49
	s_branch .LBB18_50
	.section	.rodata,"a",@progbits
	.p2align	6, 0x0
	.amdhsa_kernel _ZN9rocsparseL12csrsv_kernelILj1024ELj64ELb1Eli21rocsparse_complex_numIfEEEvT3_NS_24const_host_device_scalarIT4_EEPKT2_PKS3_PKS5_SD_lPS5_PiSB_iPS3_21rocsparse_index_base_20rocsparse_fill_mode_20rocsparse_diag_type_b
		.amdhsa_group_segment_fixed_size 128
		.amdhsa_private_segment_fixed_size 0
		.amdhsa_kernarg_size 112
		.amdhsa_user_sgpr_count 6
		.amdhsa_user_sgpr_private_segment_buffer 1
		.amdhsa_user_sgpr_dispatch_ptr 0
		.amdhsa_user_sgpr_queue_ptr 0
		.amdhsa_user_sgpr_kernarg_segment_ptr 1
		.amdhsa_user_sgpr_dispatch_id 0
		.amdhsa_user_sgpr_flat_scratch_init 0
		.amdhsa_user_sgpr_kernarg_preload_length 0
		.amdhsa_user_sgpr_kernarg_preload_offset 0
		.amdhsa_user_sgpr_private_segment_size 0
		.amdhsa_uses_dynamic_stack 0
		.amdhsa_system_sgpr_private_segment_wavefront_offset 0
		.amdhsa_system_sgpr_workgroup_id_x 1
		.amdhsa_system_sgpr_workgroup_id_y 0
		.amdhsa_system_sgpr_workgroup_id_z 0
		.amdhsa_system_sgpr_workgroup_info 0
		.amdhsa_system_vgpr_workitem_id 0
		.amdhsa_next_free_vgpr 17
		.amdhsa_next_free_sgpr 41
		.amdhsa_accum_offset 20
		.amdhsa_reserve_vcc 1
		.amdhsa_reserve_flat_scratch 0
		.amdhsa_float_round_mode_32 0
		.amdhsa_float_round_mode_16_64 0
		.amdhsa_float_denorm_mode_32 3
		.amdhsa_float_denorm_mode_16_64 3
		.amdhsa_dx10_clamp 1
		.amdhsa_ieee_mode 1
		.amdhsa_fp16_overflow 0
		.amdhsa_tg_split 0
		.amdhsa_exception_fp_ieee_invalid_op 0
		.amdhsa_exception_fp_denorm_src 0
		.amdhsa_exception_fp_ieee_div_zero 0
		.amdhsa_exception_fp_ieee_overflow 0
		.amdhsa_exception_fp_ieee_underflow 0
		.amdhsa_exception_fp_ieee_inexact 0
		.amdhsa_exception_int_div_zero 0
	.end_amdhsa_kernel
	.section	.text._ZN9rocsparseL12csrsv_kernelILj1024ELj64ELb1Eli21rocsparse_complex_numIfEEEvT3_NS_24const_host_device_scalarIT4_EEPKT2_PKS3_PKS5_SD_lPS5_PiSB_iPS3_21rocsparse_index_base_20rocsparse_fill_mode_20rocsparse_diag_type_b,"axG",@progbits,_ZN9rocsparseL12csrsv_kernelILj1024ELj64ELb1Eli21rocsparse_complex_numIfEEEvT3_NS_24const_host_device_scalarIT4_EEPKT2_PKS3_PKS5_SD_lPS5_PiSB_iPS3_21rocsparse_index_base_20rocsparse_fill_mode_20rocsparse_diag_type_b,comdat
.Lfunc_end18:
	.size	_ZN9rocsparseL12csrsv_kernelILj1024ELj64ELb1Eli21rocsparse_complex_numIfEEEvT3_NS_24const_host_device_scalarIT4_EEPKT2_PKS3_PKS5_SD_lPS5_PiSB_iPS3_21rocsparse_index_base_20rocsparse_fill_mode_20rocsparse_diag_type_b, .Lfunc_end18-_ZN9rocsparseL12csrsv_kernelILj1024ELj64ELb1Eli21rocsparse_complex_numIfEEEvT3_NS_24const_host_device_scalarIT4_EEPKT2_PKS3_PKS5_SD_lPS5_PiSB_iPS3_21rocsparse_index_base_20rocsparse_fill_mode_20rocsparse_diag_type_b
                                        ; -- End function
	.section	.AMDGPU.csdata,"",@progbits
; Kernel info:
; codeLenInByte = 1700
; NumSgprs: 45
; NumVgprs: 17
; NumAgprs: 0
; TotalNumVgprs: 17
; ScratchSize: 0
; MemoryBound: 0
; FloatMode: 240
; IeeeMode: 1
; LDSByteSize: 128 bytes/workgroup (compile time only)
; SGPRBlocks: 5
; VGPRBlocks: 2
; NumSGPRsForWavesPerEU: 45
; NumVGPRsForWavesPerEU: 17
; AccumOffset: 20
; Occupancy: 8
; WaveLimiterHint : 1
; COMPUTE_PGM_RSRC2:SCRATCH_EN: 0
; COMPUTE_PGM_RSRC2:USER_SGPR: 6
; COMPUTE_PGM_RSRC2:TRAP_HANDLER: 0
; COMPUTE_PGM_RSRC2:TGID_X_EN: 1
; COMPUTE_PGM_RSRC2:TGID_Y_EN: 0
; COMPUTE_PGM_RSRC2:TGID_Z_EN: 0
; COMPUTE_PGM_RSRC2:TIDIG_COMP_CNT: 0
; COMPUTE_PGM_RSRC3_GFX90A:ACCUM_OFFSET: 4
; COMPUTE_PGM_RSRC3_GFX90A:TG_SPLIT: 0
	.section	.text._ZN9rocsparseL12csrsv_kernelILj1024ELj32ELb0Eli21rocsparse_complex_numIfEEEvT3_NS_24const_host_device_scalarIT4_EEPKT2_PKS3_PKS5_SD_lPS5_PiSB_iPS3_21rocsparse_index_base_20rocsparse_fill_mode_20rocsparse_diag_type_b,"axG",@progbits,_ZN9rocsparseL12csrsv_kernelILj1024ELj32ELb0Eli21rocsparse_complex_numIfEEEvT3_NS_24const_host_device_scalarIT4_EEPKT2_PKS3_PKS5_SD_lPS5_PiSB_iPS3_21rocsparse_index_base_20rocsparse_fill_mode_20rocsparse_diag_type_b,comdat
	.globl	_ZN9rocsparseL12csrsv_kernelILj1024ELj32ELb0Eli21rocsparse_complex_numIfEEEvT3_NS_24const_host_device_scalarIT4_EEPKT2_PKS3_PKS5_SD_lPS5_PiSB_iPS3_21rocsparse_index_base_20rocsparse_fill_mode_20rocsparse_diag_type_b ; -- Begin function _ZN9rocsparseL12csrsv_kernelILj1024ELj32ELb0Eli21rocsparse_complex_numIfEEEvT3_NS_24const_host_device_scalarIT4_EEPKT2_PKS3_PKS5_SD_lPS5_PiSB_iPS3_21rocsparse_index_base_20rocsparse_fill_mode_20rocsparse_diag_type_b
	.p2align	8
	.type	_ZN9rocsparseL12csrsv_kernelILj1024ELj32ELb0Eli21rocsparse_complex_numIfEEEvT3_NS_24const_host_device_scalarIT4_EEPKT2_PKS3_PKS5_SD_lPS5_PiSB_iPS3_21rocsparse_index_base_20rocsparse_fill_mode_20rocsparse_diag_type_b,@function
_ZN9rocsparseL12csrsv_kernelILj1024ELj32ELb0Eli21rocsparse_complex_numIfEEEvT3_NS_24const_host_device_scalarIT4_EEPKT2_PKS3_PKS5_SD_lPS5_PiSB_iPS3_21rocsparse_index_base_20rocsparse_fill_mode_20rocsparse_diag_type_b: ; @_ZN9rocsparseL12csrsv_kernelILj1024ELj32ELb0Eli21rocsparse_complex_numIfEEEvT3_NS_24const_host_device_scalarIT4_EEPKT2_PKS3_PKS5_SD_lPS5_PiSB_iPS3_21rocsparse_index_base_20rocsparse_fill_mode_20rocsparse_diag_type_b
; %bb.0:
	s_load_dwordx4 s[8:11], s[4:5], 0x60
	s_load_dwordx2 s[16:17], s[4:5], 0x8
	s_waitcnt lgkmcnt(0)
	s_bitcmp1_b32 s11, 0
	s_cselect_b64 s[2:3], -1, 0
	s_xor_b64 s[0:1], s[2:3], -1
	s_and_b64 vcc, exec, s[2:3]
	s_mov_b32 s18, s16
	s_cbranch_vccnz .LBB19_2
; %bb.1:
	s_load_dword s18, s[16:17], 0x0
.LBB19_2:
	s_andn2_b64 vcc, exec, s[0:1]
	s_cbranch_vccnz .LBB19_4
; %bb.3:
	s_load_dword s17, s[16:17], 0x4
.LBB19_4:
	s_nop 0
	s_load_dword s1, s[4:5], 0x0
	v_lshrrev_b32_e32 v1, 5, v0
	v_readfirstlane_b32 s11, v1
	s_lshl_b32 s0, s6, 5
	s_add_i32 s0, s11, s0
	s_waitcnt lgkmcnt(0)
	s_cmp_ge_i32 s0, s1
	s_cbranch_scc1 .LBB19_48
; %bb.5:
	s_load_dword s1, s[4:5], 0x50
	s_load_dwordx2 s[2:3], s[4:5], 0x48
	s_mov_b32 s22, 0
	v_and_b32_e32 v10, 31, v0
	s_mov_b32 s23, s22
	s_waitcnt lgkmcnt(0)
	s_add_i32 s0, s0, s1
	s_ashr_i32 s1, s0, 31
	s_lshl_b64 s[0:1], s[0:1], 2
	s_add_u32 s0, s2, s0
	s_addc_u32 s1, s3, s1
	s_load_dword s6, s[0:1], 0x0
	s_load_dwordx2 s[2:3], s[4:5], 0x10
	s_load_dwordx4 s[12:15], s[4:5], 0x38
	v_cmp_eq_u32_e32 vcc, 0, v10
	v_pk_mov_b32 v[2:3], s[22:23], s[22:23] op_sel:[0,1]
	s_waitcnt lgkmcnt(0)
	s_ashr_i32 s7, s6, 31
	s_lshl_b64 s[20:21], s[6:7], 3
	s_add_u32 s0, s2, s20
	s_addc_u32 s1, s3, s21
	s_load_dwordx4 s[0:3], s[0:1], 0x0
	s_and_saveexec_b64 s[22:23], vcc
	s_cbranch_execz .LBB19_7
; %bb.6:
	s_load_dwordx4 s[24:27], s[4:5], 0x28
	v_mov_b32_e32 v1, s18
	s_waitcnt lgkmcnt(0)
	s_mul_i32 s16, s6, s27
	s_mul_hi_u32 s19, s6, s26
	s_mul_i32 s27, s7, s26
	s_add_i32 s16, s19, s16
	s_mul_i32 s26, s6, s26
	s_add_i32 s27, s16, s27
	s_lshl_b64 s[26:27], s[26:27], 3
	s_add_u32 s24, s24, s26
	s_addc_u32 s25, s25, s27
	s_load_dwordx2 s[24:25], s[24:25], 0x0
	s_xor_b32 s16, s17, 0x80000000
	v_mov_b32_e32 v0, s16
	s_mov_b32 s19, s17
	s_waitcnt lgkmcnt(0)
	v_pk_mul_f32 v[0:1], s[24:25], v[0:1] op_sel:[1,0]
	v_pk_mov_b32 v[2:3], s[24:25], s[24:25] op_sel:[0,1]
	v_pk_fma_f32 v[2:3], s[18:19], v[2:3], v[0:1] op_sel_hi:[1,0,1]
.LBB19_7:
	s_or_b64 exec, exec, s[22:23]
	s_waitcnt lgkmcnt(0)
	s_sub_u32 s22, s2, s8
	v_subrev_co_u32_e32 v0, vcc, s8, v10
	s_subb_u32 s23, s3, 0
	v_subb_co_u32_e64 v1, s[2:3], 0, 0, vcc
	v_mov_b32_e32 v4, s1
	v_add_co_u32_e32 v0, vcc, s0, v0
	v_addc_co_u32_e32 v1, vcc, v4, v1, vcc
	v_cmp_gt_i64_e32 vcc, s[22:23], v[0:1]
	s_and_saveexec_b64 s[24:25], vcc
	s_cbranch_execz .LBB19_45
; %bb.8:
	s_load_dwordx2 s[26:27], s[4:5], 0x58
	s_load_dwordx4 s[16:19], s[4:5], 0x18
	s_cmp_eq_u32 s10, 0
	s_cselect_b64 s[28:29], -1, 0
	v_cndmask_b32_e64 v4, 0, 1, s[28:29]
	s_add_i32 s33, s6, s8
	s_lshl_b32 s40, s11, 3
	s_mov_b64 s[30:31], 0
	s_waitcnt lgkmcnt(0)
	v_mov_b32_e32 v11, s17
	v_mov_b32_e32 v12, s19
	;; [unrolled: 1-line block ×3, first 2 shown]
	v_cmp_ne_u32_e64 s[0:1], 1, v4
	s_branch .LBB19_10
.LBB19_9:                               ;   in Loop: Header=BB19_10 Depth=1
	s_or_b64 exec, exec, s[34:35]
	s_and_b64 s[2:3], exec, s[2:3]
	s_or_b64 s[30:31], s[2:3], s[30:31]
	v_pk_mov_b32 v[2:3], v[8:9], v[8:9] op_sel:[0,1]
	s_andn2_b64 exec, exec, s[30:31]
	s_cbranch_execz .LBB19_44
.LBB19_10:                              ; =>This Loop Header: Depth=1
                                        ;     Child Loop BB19_35 Depth 2
	v_lshlrev_b64 v[4:5], 2, v[0:1]
	v_add_co_u32_e32 v4, vcc, s16, v4
	v_addc_co_u32_e32 v5, vcc, v11, v5, vcc
	global_load_dword v6, v[4:5], off glc slc
	v_lshlrev_b64 v[4:5], 3, v[0:1]
	v_add_co_u32_e32 v4, vcc, s18, v4
	v_addc_co_u32_e32 v5, vcc, v12, v5, vcc
	global_load_dwordx2 v[4:5], v[4:5], off glc slc
	s_waitcnt vmcnt(1)
	v_subrev_u32_e32 v6, s8, v6
	s_waitcnt vmcnt(0)
	v_cmp_eq_f32_e32 vcc, 0, v4
	v_cmp_eq_f32_e64 s[2:3], 0, v5
	s_and_b64 s[2:3], vcc, s[2:3]
	v_cmp_eq_u32_e32 vcc, s6, v6
	s_and_b64 s[2:3], s[2:3], vcc
	s_and_b64 s[2:3], s[28:29], s[2:3]
	s_and_saveexec_b64 s[4:5], s[2:3]
	s_cbranch_execz .LBB19_14
; %bb.11:                               ;   in Loop: Header=BB19_10 Depth=1
	v_mbcnt_lo_u32_b32 v4, exec_lo, 0
	v_mbcnt_hi_u32_b32 v4, exec_hi, v4
	v_cmp_eq_u32_e64 s[2:3], 0, v4
	s_and_saveexec_b64 s[34:35], s[2:3]
	s_cbranch_execz .LBB19_13
; %bb.12:                               ;   in Loop: Header=BB19_10 Depth=1
	v_mov_b32_e32 v4, s33
	global_atomic_smin v13, v4, s[26:27]
.LBB19_13:                              ;   in Loop: Header=BB19_10 Depth=1
	s_or_b64 exec, exec, s[34:35]
	v_mov_b32_e32 v4, 1.0
	v_mov_b32_e32 v5, 0
.LBB19_14:                              ;   in Loop: Header=BB19_10 Depth=1
	s_or_b64 exec, exec, s[4:5]
	v_cmp_ne_u32_e64 s[2:3], s6, v6
	s_cmp_lt_i32 s9, 1
	s_mov_b64 s[34:35], 0
	s_cbranch_scc1 .LBB19_23
; %bb.15:                               ;   in Loop: Header=BB19_10 Depth=1
	s_cmp_eq_u32 s9, 1
	s_cbranch_scc0 .LBB19_24
; %bb.16:                               ;   in Loop: Header=BB19_10 Depth=1
	v_cmp_le_i32_e64 s[4:5], s6, v6
	s_mov_b64 s[36:37], 0
	s_and_saveexec_b64 s[38:39], s[4:5]
	s_cbranch_execz .LBB19_22
; %bb.17:                               ;   in Loop: Header=BB19_10 Depth=1
	s_mov_b64 s[36:37], -1
	s_and_saveexec_b64 s[4:5], vcc
	s_xor_b64 s[4:5], exec, s[4:5]
	s_cbranch_execz .LBB19_21
; %bb.18:                               ;   in Loop: Header=BB19_10 Depth=1
	s_and_b64 vcc, exec, s[0:1]
	s_cbranch_vccnz .LBB19_20
; %bb.19:                               ;   in Loop: Header=BB19_10 Depth=1
	v_mul_f32_e32 v7, v5, v5
	v_fmac_f32_e32 v7, v4, v4
	v_div_scale_f32 v8, s[36:37], v7, v7, 1.0
	v_rcp_f32_e32 v9, v8
	v_div_scale_f32 v14, vcc, 1.0, v7, 1.0
	v_fma_f32 v15, -v8, v9, 1.0
	v_fmac_f32_e32 v9, v15, v9
	v_mul_f32_e32 v15, v14, v9
	v_fma_f32 v16, -v8, v15, v14
	v_fmac_f32_e32 v15, v16, v9
	v_fma_f32 v8, -v8, v15, v14
	v_div_fmas_f32 v8, v8, v9, v15
	v_div_fixup_f32 v8, v8, v7, 1.0
	v_fma_f32 v14, 0, v5, v4
	v_fma_f32 v15, v4, 0, -v5
	v_pk_mul_f32 v[8:9], v[14:15], v[8:9] op_sel_hi:[1,0]
	v_mov_b32_e32 v7, s40
	ds_write_b64 v7, v[8:9]
.LBB19_20:                              ;   in Loop: Header=BB19_10 Depth=1
	s_xor_b64 s[36:37], exec, -1
.LBB19_21:                              ;   in Loop: Header=BB19_10 Depth=1
	s_or_b64 exec, exec, s[4:5]
	s_and_b64 s[36:37], s[36:37], exec
.LBB19_22:                              ;   in Loop: Header=BB19_10 Depth=1
	s_or_b64 exec, exec, s[38:39]
	s_mov_b32 s17, 4
	v_pk_mov_b32 v[8:9], v[2:3], v[2:3] op_sel:[0,1]
	s_branch .LBB19_25
.LBB19_23:                              ;   in Loop: Header=BB19_10 Depth=1
	s_mov_b64 s[36:37], 0
                                        ; implicit-def: $vgpr8_vgpr9
                                        ; implicit-def: $sgpr17
	s_cbranch_execnz .LBB19_26
	s_branch .LBB19_28
.LBB19_24:                              ;   in Loop: Header=BB19_10 Depth=1
	s_mov_b64 s[36:37], -1
                                        ; implicit-def: $vgpr8_vgpr9
                                        ; implicit-def: $sgpr17
.LBB19_25:                              ;   in Loop: Header=BB19_10 Depth=1
	s_branch .LBB19_28
.LBB19_26:                              ;   in Loop: Header=BB19_10 Depth=1
	s_cmp_eq_u32 s9, 0
	s_cbranch_scc1 .LBB19_30
; %bb.27:                               ;   in Loop: Header=BB19_10 Depth=1
	s_mov_b64 s[36:37], -1
                                        ; implicit-def: $vgpr8_vgpr9
                                        ; implicit-def: $sgpr17
.LBB19_28:                              ;   in Loop: Header=BB19_10 Depth=1
	v_mov_b32_e32 v7, s17
	s_and_saveexec_b64 s[2:3], s[36:37]
	s_cbranch_execnz .LBB19_33
.LBB19_29:                              ;   in Loop: Header=BB19_10 Depth=1
	s_or_b64 exec, exec, s[2:3]
	s_and_saveexec_b64 s[2:3], s[34:35]
	s_cbranch_execnz .LBB19_37
	s_branch .LBB19_40
.LBB19_30:                              ;   in Loop: Header=BB19_10 Depth=1
	v_cmp_ge_i32_e32 vcc, s6, v6
	s_mov_b64 s[36:37], 0
	s_and_saveexec_b64 s[4:5], vcc
; %bb.31:                               ;   in Loop: Header=BB19_10 Depth=1
	s_mov_b64 s[34:35], exec
	s_and_b64 s[36:37], s[2:3], exec
; %bb.32:                               ;   in Loop: Header=BB19_10 Depth=1
	s_or_b64 exec, exec, s[4:5]
	s_mov_b32 s17, 2
	v_pk_mov_b32 v[8:9], v[2:3], v[2:3] op_sel:[0,1]
	v_mov_b32_e32 v7, s17
	s_and_saveexec_b64 s[2:3], s[36:37]
	s_cbranch_execz .LBB19_29
.LBB19_33:                              ;   in Loop: Header=BB19_10 Depth=1
	v_ashrrev_i32_e32 v7, 31, v6
	v_lshlrev_b64 v[8:9], 2, v[6:7]
	v_mov_b32_e32 v14, s15
	v_add_co_u32_e32 v8, vcc, s14, v8
	v_addc_co_u32_e32 v9, vcc, v14, v9, vcc
	global_load_dword v14, v[8:9], off glc
	s_waitcnt vmcnt(0)
	v_cmp_eq_u32_e32 vcc, 0, v14
	s_and_saveexec_b64 s[4:5], vcc
	s_cbranch_execz .LBB19_36
; %bb.34:                               ;   in Loop: Header=BB19_10 Depth=1
	s_mov_b64 s[36:37], 0
.LBB19_35:                              ;   Parent Loop BB19_10 Depth=1
                                        ; =>  This Inner Loop Header: Depth=2
	global_load_dword v14, v[8:9], off glc
	s_waitcnt vmcnt(0)
	v_cmp_ne_u32_e32 vcc, 0, v14
	s_or_b64 s[36:37], vcc, s[36:37]
	s_andn2_b64 exec, exec, s[36:37]
	s_cbranch_execnz .LBB19_35
.LBB19_36:                              ;   in Loop: Header=BB19_10 Depth=1
	s_or_b64 exec, exec, s[4:5]
	v_lshlrev_b64 v[6:7], 3, v[6:7]
	v_mov_b32_e32 v8, s13
	v_add_co_u32_e32 v6, vcc, s12, v6
	v_addc_co_u32_e32 v7, vcc, v8, v7, vcc
	s_waitcnt lgkmcnt(0)
	buffer_wbinvl1_vol
	global_load_dwordx2 v[8:9], v[6:7], off
	v_mov_b32_e32 v7, 0
	s_andn2_b64 s[34:35], s[34:35], exec
	s_waitcnt vmcnt(0)
	v_pk_fma_f32 v[14:15], v[4:5], v[8:9], v[2:3] op_sel_hi:[1,0,1] neg_lo:[1,0,0] neg_hi:[1,0,0]
	v_pk_fma_f32 v[8:9], v[4:5], v[8:9], v[14:15] op_sel:[1,1,0] op_sel_hi:[0,1,1] neg_hi:[1,0,0]
	s_or_b64 exec, exec, s[2:3]
	s_and_saveexec_b64 s[2:3], s[34:35]
	s_cbranch_execz .LBB19_40
.LBB19_37:                              ;   in Loop: Header=BB19_10 Depth=1
	s_and_b64 vcc, exec, s[0:1]
	s_cbranch_vccnz .LBB19_39
; %bb.38:                               ;   in Loop: Header=BB19_10 Depth=1
	v_mul_f32_e32 v6, v5, v5
	v_fmac_f32_e32 v6, v4, v4
	v_div_scale_f32 v7, s[4:5], v6, v6, 1.0
	v_rcp_f32_e32 v8, v7
	v_div_scale_f32 v9, vcc, 1.0, v6, 1.0
	v_fma_f32 v14, -v7, v8, 1.0
	v_fmac_f32_e32 v8, v14, v8
	v_mul_f32_e32 v14, v9, v8
	v_fma_f32 v15, -v7, v14, v9
	v_fmac_f32_e32 v14, v15, v8
	v_fma_f32 v7, -v7, v14, v9
	v_div_fmas_f32 v7, v7, v8, v14
	v_div_fixup_f32 v6, v7, v6, 1.0
	v_fma_f32 v8, 0, v5, v4
	v_fma_f32 v9, v4, 0, -v5
	v_pk_mul_f32 v[4:5], v[8:9], v[6:7] op_sel_hi:[1,0]
	v_mov_b32_e32 v6, s40
	ds_write_b64 v6, v[4:5]
.LBB19_39:                              ;   in Loop: Header=BB19_10 Depth=1
	v_mov_b32_e32 v7, 2
	v_pk_mov_b32 v[8:9], v[2:3], v[2:3] op_sel:[0,1]
.LBB19_40:                              ;   in Loop: Header=BB19_10 Depth=1
	s_or_b64 exec, exec, s[2:3]
	v_cmp_gt_i32_e32 vcc, 4, v7
	s_mov_b64 s[2:3], -1
	s_mov_b64 s[4:5], -1
	s_and_saveexec_b64 s[34:35], vcc
; %bb.41:                               ;   in Loop: Header=BB19_10 Depth=1
	v_cmp_eq_u32_e32 vcc, 0, v7
	s_orn2_b64 s[4:5], vcc, exec
; %bb.42:                               ;   in Loop: Header=BB19_10 Depth=1
	s_or_b64 exec, exec, s[34:35]
	s_and_saveexec_b64 s[34:35], s[4:5]
	s_cbranch_execz .LBB19_9
; %bb.43:                               ;   in Loop: Header=BB19_10 Depth=1
	v_add_co_u32_e32 v0, vcc, 32, v0
	v_addc_co_u32_e32 v1, vcc, 0, v1, vcc
	v_cmp_le_i64_e32 vcc, s[22:23], v[0:1]
	s_orn2_b64 s[2:3], vcc, exec
	s_branch .LBB19_9
.LBB19_44:
	s_or_b64 exec, exec, s[30:31]
	v_pk_mov_b32 v[2:3], v[8:9], v[8:9] op_sel:[0,1]
.LBB19_45:
	s_or_b64 exec, exec, s[24:25]
	s_nop 0
	v_mov_b32_dpp v0, v2 row_shr:1 row_mask:0xf bank_mask:0xf
	v_mov_b32_dpp v1, v3 row_shr:1 row_mask:0xf bank_mask:0xf
	v_pk_add_f32 v[0:1], v[2:3], v[0:1]
	s_cmp_lg_u32 s10, 0
	s_nop 0
	v_mov_b32_dpp v2, v0 row_shr:2 row_mask:0xf bank_mask:0xf
	v_mov_b32_dpp v3, v1 row_shr:2 row_mask:0xf bank_mask:0xf
	v_pk_add_f32 v[0:1], v[0:1], v[2:3]
	s_nop 1
	v_mov_b32_dpp v2, v0 row_shr:4 row_mask:0xf bank_mask:0xe
	v_mov_b32_dpp v3, v1 row_shr:4 row_mask:0xf bank_mask:0xe
	v_pk_add_f32 v[0:1], v[0:1], v[2:3]
	;; [unrolled: 4-line block ×3, first 2 shown]
	s_nop 1
	v_mov_b32_dpp v2, v0 row_bcast:15 row_mask:0xa bank_mask:0xf
	v_mov_b32_dpp v3, v1 row_bcast:15 row_mask:0xa bank_mask:0xf
	v_pk_add_f32 v[0:1], v[0:1], v[2:3]
	s_cbranch_scc0 .LBB19_49
; %bb.46:
	v_cmp_eq_u32_e32 vcc, 31, v10
	s_and_saveexec_b64 s[0:1], vcc
	s_cbranch_execz .LBB19_48
.LBB19_47:
	s_add_u32 s0, s12, s20
	s_addc_u32 s1, s13, s21
	s_lshl_b64 s[2:3], s[6:7], 2
	v_mov_b32_e32 v2, 0
	s_add_u32 s2, s14, s2
	s_addc_u32 s3, s15, s3
	global_store_dwordx2 v2, v[0:1], s[0:1] glc slc
	v_mov_b32_e32 v0, 1
	s_waitcnt vmcnt(0)
	global_store_dword v2, v0, s[2:3]
.LBB19_48:
	s_endpgm
.LBB19_49:
	s_lshl_b32 s0, s11, 3
	v_mov_b32_e32 v2, s0
	s_waitcnt lgkmcnt(0)
	ds_read_b64 v[2:3], v2
	s_waitcnt lgkmcnt(0)
	v_pk_mul_f32 v[4:5], v[2:3], v[0:1] op_sel:[1,1] op_sel_hi:[1,0] neg_lo:[0,1]
	v_pk_fma_f32 v[0:1], v[0:1], v[2:3], v[4:5] op_sel_hi:[1,0,1]
	v_cmp_eq_u32_e32 vcc, 31, v10
	s_and_saveexec_b64 s[0:1], vcc
	s_cbranch_execnz .LBB19_47
	s_branch .LBB19_48
	.section	.rodata,"a",@progbits
	.p2align	6, 0x0
	.amdhsa_kernel _ZN9rocsparseL12csrsv_kernelILj1024ELj32ELb0Eli21rocsparse_complex_numIfEEEvT3_NS_24const_host_device_scalarIT4_EEPKT2_PKS3_PKS5_SD_lPS5_PiSB_iPS3_21rocsparse_index_base_20rocsparse_fill_mode_20rocsparse_diag_type_b
		.amdhsa_group_segment_fixed_size 256
		.amdhsa_private_segment_fixed_size 0
		.amdhsa_kernarg_size 112
		.amdhsa_user_sgpr_count 6
		.amdhsa_user_sgpr_private_segment_buffer 1
		.amdhsa_user_sgpr_dispatch_ptr 0
		.amdhsa_user_sgpr_queue_ptr 0
		.amdhsa_user_sgpr_kernarg_segment_ptr 1
		.amdhsa_user_sgpr_dispatch_id 0
		.amdhsa_user_sgpr_flat_scratch_init 0
		.amdhsa_user_sgpr_kernarg_preload_length 0
		.amdhsa_user_sgpr_kernarg_preload_offset 0
		.amdhsa_user_sgpr_private_segment_size 0
		.amdhsa_uses_dynamic_stack 0
		.amdhsa_system_sgpr_private_segment_wavefront_offset 0
		.amdhsa_system_sgpr_workgroup_id_x 1
		.amdhsa_system_sgpr_workgroup_id_y 0
		.amdhsa_system_sgpr_workgroup_id_z 0
		.amdhsa_system_sgpr_workgroup_info 0
		.amdhsa_system_vgpr_workitem_id 0
		.amdhsa_next_free_vgpr 17
		.amdhsa_next_free_sgpr 41
		.amdhsa_accum_offset 20
		.amdhsa_reserve_vcc 1
		.amdhsa_reserve_flat_scratch 0
		.amdhsa_float_round_mode_32 0
		.amdhsa_float_round_mode_16_64 0
		.amdhsa_float_denorm_mode_32 3
		.amdhsa_float_denorm_mode_16_64 3
		.amdhsa_dx10_clamp 1
		.amdhsa_ieee_mode 1
		.amdhsa_fp16_overflow 0
		.amdhsa_tg_split 0
		.amdhsa_exception_fp_ieee_invalid_op 0
		.amdhsa_exception_fp_denorm_src 0
		.amdhsa_exception_fp_ieee_div_zero 0
		.amdhsa_exception_fp_ieee_overflow 0
		.amdhsa_exception_fp_ieee_underflow 0
		.amdhsa_exception_fp_ieee_inexact 0
		.amdhsa_exception_int_div_zero 0
	.end_amdhsa_kernel
	.section	.text._ZN9rocsparseL12csrsv_kernelILj1024ELj32ELb0Eli21rocsparse_complex_numIfEEEvT3_NS_24const_host_device_scalarIT4_EEPKT2_PKS3_PKS5_SD_lPS5_PiSB_iPS3_21rocsparse_index_base_20rocsparse_fill_mode_20rocsparse_diag_type_b,"axG",@progbits,_ZN9rocsparseL12csrsv_kernelILj1024ELj32ELb0Eli21rocsparse_complex_numIfEEEvT3_NS_24const_host_device_scalarIT4_EEPKT2_PKS3_PKS5_SD_lPS5_PiSB_iPS3_21rocsparse_index_base_20rocsparse_fill_mode_20rocsparse_diag_type_b,comdat
.Lfunc_end19:
	.size	_ZN9rocsparseL12csrsv_kernelILj1024ELj32ELb0Eli21rocsparse_complex_numIfEEEvT3_NS_24const_host_device_scalarIT4_EEPKT2_PKS3_PKS5_SD_lPS5_PiSB_iPS3_21rocsparse_index_base_20rocsparse_fill_mode_20rocsparse_diag_type_b, .Lfunc_end19-_ZN9rocsparseL12csrsv_kernelILj1024ELj32ELb0Eli21rocsparse_complex_numIfEEEvT3_NS_24const_host_device_scalarIT4_EEPKT2_PKS3_PKS5_SD_lPS5_PiSB_iPS3_21rocsparse_index_base_20rocsparse_fill_mode_20rocsparse_diag_type_b
                                        ; -- End function
	.section	.AMDGPU.csdata,"",@progbits
; Kernel info:
; codeLenInByte = 1616
; NumSgprs: 45
; NumVgprs: 17
; NumAgprs: 0
; TotalNumVgprs: 17
; ScratchSize: 0
; MemoryBound: 0
; FloatMode: 240
; IeeeMode: 1
; LDSByteSize: 256 bytes/workgroup (compile time only)
; SGPRBlocks: 5
; VGPRBlocks: 2
; NumSGPRsForWavesPerEU: 45
; NumVGPRsForWavesPerEU: 17
; AccumOffset: 20
; Occupancy: 8
; WaveLimiterHint : 1
; COMPUTE_PGM_RSRC2:SCRATCH_EN: 0
; COMPUTE_PGM_RSRC2:USER_SGPR: 6
; COMPUTE_PGM_RSRC2:TRAP_HANDLER: 0
; COMPUTE_PGM_RSRC2:TGID_X_EN: 1
; COMPUTE_PGM_RSRC2:TGID_Y_EN: 0
; COMPUTE_PGM_RSRC2:TGID_Z_EN: 0
; COMPUTE_PGM_RSRC2:TIDIG_COMP_CNT: 0
; COMPUTE_PGM_RSRC3_GFX90A:ACCUM_OFFSET: 4
; COMPUTE_PGM_RSRC3_GFX90A:TG_SPLIT: 0
	.section	.text._ZN9rocsparseL12csrsv_kernelILj1024ELj64ELb0Eli21rocsparse_complex_numIfEEEvT3_NS_24const_host_device_scalarIT4_EEPKT2_PKS3_PKS5_SD_lPS5_PiSB_iPS3_21rocsparse_index_base_20rocsparse_fill_mode_20rocsparse_diag_type_b,"axG",@progbits,_ZN9rocsparseL12csrsv_kernelILj1024ELj64ELb0Eli21rocsparse_complex_numIfEEEvT3_NS_24const_host_device_scalarIT4_EEPKT2_PKS3_PKS5_SD_lPS5_PiSB_iPS3_21rocsparse_index_base_20rocsparse_fill_mode_20rocsparse_diag_type_b,comdat
	.globl	_ZN9rocsparseL12csrsv_kernelILj1024ELj64ELb0Eli21rocsparse_complex_numIfEEEvT3_NS_24const_host_device_scalarIT4_EEPKT2_PKS3_PKS5_SD_lPS5_PiSB_iPS3_21rocsparse_index_base_20rocsparse_fill_mode_20rocsparse_diag_type_b ; -- Begin function _ZN9rocsparseL12csrsv_kernelILj1024ELj64ELb0Eli21rocsparse_complex_numIfEEEvT3_NS_24const_host_device_scalarIT4_EEPKT2_PKS3_PKS5_SD_lPS5_PiSB_iPS3_21rocsparse_index_base_20rocsparse_fill_mode_20rocsparse_diag_type_b
	.p2align	8
	.type	_ZN9rocsparseL12csrsv_kernelILj1024ELj64ELb0Eli21rocsparse_complex_numIfEEEvT3_NS_24const_host_device_scalarIT4_EEPKT2_PKS3_PKS5_SD_lPS5_PiSB_iPS3_21rocsparse_index_base_20rocsparse_fill_mode_20rocsparse_diag_type_b,@function
_ZN9rocsparseL12csrsv_kernelILj1024ELj64ELb0Eli21rocsparse_complex_numIfEEEvT3_NS_24const_host_device_scalarIT4_EEPKT2_PKS3_PKS5_SD_lPS5_PiSB_iPS3_21rocsparse_index_base_20rocsparse_fill_mode_20rocsparse_diag_type_b: ; @_ZN9rocsparseL12csrsv_kernelILj1024ELj64ELb0Eli21rocsparse_complex_numIfEEEvT3_NS_24const_host_device_scalarIT4_EEPKT2_PKS3_PKS5_SD_lPS5_PiSB_iPS3_21rocsparse_index_base_20rocsparse_fill_mode_20rocsparse_diag_type_b
; %bb.0:
	s_load_dwordx4 s[8:11], s[4:5], 0x60
	s_load_dwordx2 s[16:17], s[4:5], 0x8
	s_waitcnt lgkmcnt(0)
	s_bitcmp1_b32 s11, 0
	s_cselect_b64 s[2:3], -1, 0
	s_xor_b64 s[0:1], s[2:3], -1
	s_and_b64 vcc, exec, s[2:3]
	s_mov_b32 s18, s16
	s_cbranch_vccnz .LBB20_2
; %bb.1:
	s_load_dword s18, s[16:17], 0x0
.LBB20_2:
	s_andn2_b64 vcc, exec, s[0:1]
	s_cbranch_vccnz .LBB20_4
; %bb.3:
	s_load_dword s17, s[16:17], 0x4
.LBB20_4:
	s_nop 0
	s_load_dword s1, s[4:5], 0x0
	v_lshrrev_b32_e32 v1, 6, v0
	v_readfirstlane_b32 s11, v1
	s_lshl_b32 s0, s6, 4
	s_add_i32 s0, s11, s0
	s_waitcnt lgkmcnt(0)
	s_cmp_ge_i32 s0, s1
	s_cbranch_scc1 .LBB20_48
; %bb.5:
	s_load_dword s1, s[4:5], 0x50
	s_load_dwordx2 s[2:3], s[4:5], 0x48
	s_mov_b32 s22, 0
	v_and_b32_e32 v10, 63, v0
	s_mov_b32 s23, s22
	s_waitcnt lgkmcnt(0)
	s_add_i32 s0, s0, s1
	s_ashr_i32 s1, s0, 31
	s_lshl_b64 s[0:1], s[0:1], 2
	s_add_u32 s0, s2, s0
	s_addc_u32 s1, s3, s1
	s_load_dword s6, s[0:1], 0x0
	s_load_dwordx2 s[2:3], s[4:5], 0x10
	s_load_dwordx4 s[12:15], s[4:5], 0x38
	v_cmp_eq_u32_e32 vcc, 0, v10
	v_pk_mov_b32 v[2:3], s[22:23], s[22:23] op_sel:[0,1]
	s_waitcnt lgkmcnt(0)
	s_ashr_i32 s7, s6, 31
	s_lshl_b64 s[20:21], s[6:7], 3
	s_add_u32 s0, s2, s20
	s_addc_u32 s1, s3, s21
	s_load_dwordx4 s[0:3], s[0:1], 0x0
	s_and_saveexec_b64 s[22:23], vcc
	s_cbranch_execz .LBB20_7
; %bb.6:
	s_load_dwordx4 s[24:27], s[4:5], 0x28
	v_mov_b32_e32 v1, s18
	s_waitcnt lgkmcnt(0)
	s_mul_i32 s16, s6, s27
	s_mul_hi_u32 s19, s6, s26
	s_mul_i32 s27, s7, s26
	s_add_i32 s16, s19, s16
	s_mul_i32 s26, s6, s26
	s_add_i32 s27, s16, s27
	s_lshl_b64 s[26:27], s[26:27], 3
	s_add_u32 s24, s24, s26
	s_addc_u32 s25, s25, s27
	s_load_dwordx2 s[24:25], s[24:25], 0x0
	s_xor_b32 s16, s17, 0x80000000
	v_mov_b32_e32 v0, s16
	s_mov_b32 s19, s17
	s_waitcnt lgkmcnt(0)
	v_pk_mul_f32 v[0:1], s[24:25], v[0:1] op_sel:[1,0]
	v_pk_mov_b32 v[2:3], s[24:25], s[24:25] op_sel:[0,1]
	v_pk_fma_f32 v[2:3], s[18:19], v[2:3], v[0:1] op_sel_hi:[1,0,1]
.LBB20_7:
	s_or_b64 exec, exec, s[22:23]
	s_waitcnt lgkmcnt(0)
	s_sub_u32 s22, s2, s8
	v_subrev_co_u32_e32 v0, vcc, s8, v10
	s_subb_u32 s23, s3, 0
	v_subb_co_u32_e64 v1, s[2:3], 0, 0, vcc
	v_mov_b32_e32 v4, s1
	v_add_co_u32_e32 v0, vcc, s0, v0
	v_addc_co_u32_e32 v1, vcc, v4, v1, vcc
	v_cmp_gt_i64_e32 vcc, s[22:23], v[0:1]
	s_and_saveexec_b64 s[24:25], vcc
	s_cbranch_execz .LBB20_45
; %bb.8:
	s_load_dwordx2 s[26:27], s[4:5], 0x58
	s_load_dwordx4 s[16:19], s[4:5], 0x18
	s_cmp_eq_u32 s10, 0
	s_cselect_b64 s[28:29], -1, 0
	v_cndmask_b32_e64 v4, 0, 1, s[28:29]
	s_add_i32 s33, s6, s8
	s_lshl_b32 s40, s11, 3
	s_mov_b64 s[30:31], 0
	s_waitcnt lgkmcnt(0)
	v_mov_b32_e32 v11, s17
	v_mov_b32_e32 v12, s19
	;; [unrolled: 1-line block ×3, first 2 shown]
	v_cmp_ne_u32_e64 s[0:1], 1, v4
	s_branch .LBB20_10
.LBB20_9:                               ;   in Loop: Header=BB20_10 Depth=1
	s_or_b64 exec, exec, s[34:35]
	s_and_b64 s[2:3], exec, s[2:3]
	s_or_b64 s[30:31], s[2:3], s[30:31]
	v_pk_mov_b32 v[2:3], v[8:9], v[8:9] op_sel:[0,1]
	s_andn2_b64 exec, exec, s[30:31]
	s_cbranch_execz .LBB20_44
.LBB20_10:                              ; =>This Loop Header: Depth=1
                                        ;     Child Loop BB20_35 Depth 2
	v_lshlrev_b64 v[4:5], 2, v[0:1]
	v_add_co_u32_e32 v4, vcc, s16, v4
	v_addc_co_u32_e32 v5, vcc, v11, v5, vcc
	global_load_dword v6, v[4:5], off glc slc
	v_lshlrev_b64 v[4:5], 3, v[0:1]
	v_add_co_u32_e32 v4, vcc, s18, v4
	v_addc_co_u32_e32 v5, vcc, v12, v5, vcc
	global_load_dwordx2 v[4:5], v[4:5], off glc slc
	s_waitcnt vmcnt(1)
	v_subrev_u32_e32 v6, s8, v6
	s_waitcnt vmcnt(0)
	v_cmp_eq_f32_e32 vcc, 0, v4
	v_cmp_eq_f32_e64 s[2:3], 0, v5
	s_and_b64 s[2:3], vcc, s[2:3]
	v_cmp_eq_u32_e32 vcc, s6, v6
	s_and_b64 s[2:3], s[2:3], vcc
	s_and_b64 s[2:3], s[28:29], s[2:3]
	s_and_saveexec_b64 s[4:5], s[2:3]
	s_cbranch_execz .LBB20_14
; %bb.11:                               ;   in Loop: Header=BB20_10 Depth=1
	v_mbcnt_lo_u32_b32 v4, exec_lo, 0
	v_mbcnt_hi_u32_b32 v4, exec_hi, v4
	v_cmp_eq_u32_e64 s[2:3], 0, v4
	s_and_saveexec_b64 s[34:35], s[2:3]
	s_cbranch_execz .LBB20_13
; %bb.12:                               ;   in Loop: Header=BB20_10 Depth=1
	v_mov_b32_e32 v4, s33
	global_atomic_smin v13, v4, s[26:27]
.LBB20_13:                              ;   in Loop: Header=BB20_10 Depth=1
	s_or_b64 exec, exec, s[34:35]
	v_mov_b32_e32 v4, 1.0
	v_mov_b32_e32 v5, 0
.LBB20_14:                              ;   in Loop: Header=BB20_10 Depth=1
	s_or_b64 exec, exec, s[4:5]
	v_cmp_ne_u32_e64 s[2:3], s6, v6
	s_cmp_lt_i32 s9, 1
	s_mov_b64 s[34:35], 0
	s_cbranch_scc1 .LBB20_23
; %bb.15:                               ;   in Loop: Header=BB20_10 Depth=1
	s_cmp_eq_u32 s9, 1
	s_cbranch_scc0 .LBB20_24
; %bb.16:                               ;   in Loop: Header=BB20_10 Depth=1
	v_cmp_le_i32_e64 s[4:5], s6, v6
	s_mov_b64 s[36:37], 0
	s_and_saveexec_b64 s[38:39], s[4:5]
	s_cbranch_execz .LBB20_22
; %bb.17:                               ;   in Loop: Header=BB20_10 Depth=1
	s_mov_b64 s[36:37], -1
	s_and_saveexec_b64 s[4:5], vcc
	s_xor_b64 s[4:5], exec, s[4:5]
	s_cbranch_execz .LBB20_21
; %bb.18:                               ;   in Loop: Header=BB20_10 Depth=1
	s_and_b64 vcc, exec, s[0:1]
	s_cbranch_vccnz .LBB20_20
; %bb.19:                               ;   in Loop: Header=BB20_10 Depth=1
	v_mul_f32_e32 v7, v5, v5
	v_fmac_f32_e32 v7, v4, v4
	v_div_scale_f32 v8, s[36:37], v7, v7, 1.0
	v_rcp_f32_e32 v9, v8
	v_div_scale_f32 v14, vcc, 1.0, v7, 1.0
	v_fma_f32 v15, -v8, v9, 1.0
	v_fmac_f32_e32 v9, v15, v9
	v_mul_f32_e32 v15, v14, v9
	v_fma_f32 v16, -v8, v15, v14
	v_fmac_f32_e32 v15, v16, v9
	v_fma_f32 v8, -v8, v15, v14
	v_div_fmas_f32 v8, v8, v9, v15
	v_div_fixup_f32 v8, v8, v7, 1.0
	v_fma_f32 v14, 0, v5, v4
	v_fma_f32 v15, v4, 0, -v5
	v_pk_mul_f32 v[8:9], v[14:15], v[8:9] op_sel_hi:[1,0]
	v_mov_b32_e32 v7, s40
	ds_write_b64 v7, v[8:9]
.LBB20_20:                              ;   in Loop: Header=BB20_10 Depth=1
	s_xor_b64 s[36:37], exec, -1
.LBB20_21:                              ;   in Loop: Header=BB20_10 Depth=1
	s_or_b64 exec, exec, s[4:5]
	s_and_b64 s[36:37], s[36:37], exec
.LBB20_22:                              ;   in Loop: Header=BB20_10 Depth=1
	s_or_b64 exec, exec, s[38:39]
	s_mov_b32 s17, 4
	v_pk_mov_b32 v[8:9], v[2:3], v[2:3] op_sel:[0,1]
	s_branch .LBB20_25
.LBB20_23:                              ;   in Loop: Header=BB20_10 Depth=1
	s_mov_b64 s[36:37], 0
                                        ; implicit-def: $vgpr8_vgpr9
                                        ; implicit-def: $sgpr17
	s_cbranch_execnz .LBB20_26
	s_branch .LBB20_28
.LBB20_24:                              ;   in Loop: Header=BB20_10 Depth=1
	s_mov_b64 s[36:37], -1
                                        ; implicit-def: $vgpr8_vgpr9
                                        ; implicit-def: $sgpr17
.LBB20_25:                              ;   in Loop: Header=BB20_10 Depth=1
	s_branch .LBB20_28
.LBB20_26:                              ;   in Loop: Header=BB20_10 Depth=1
	s_cmp_eq_u32 s9, 0
	s_cbranch_scc1 .LBB20_30
; %bb.27:                               ;   in Loop: Header=BB20_10 Depth=1
	s_mov_b64 s[36:37], -1
                                        ; implicit-def: $vgpr8_vgpr9
                                        ; implicit-def: $sgpr17
.LBB20_28:                              ;   in Loop: Header=BB20_10 Depth=1
	v_mov_b32_e32 v7, s17
	s_and_saveexec_b64 s[2:3], s[36:37]
	s_cbranch_execnz .LBB20_33
.LBB20_29:                              ;   in Loop: Header=BB20_10 Depth=1
	s_or_b64 exec, exec, s[2:3]
	s_and_saveexec_b64 s[2:3], s[34:35]
	s_cbranch_execnz .LBB20_37
	s_branch .LBB20_40
.LBB20_30:                              ;   in Loop: Header=BB20_10 Depth=1
	v_cmp_ge_i32_e32 vcc, s6, v6
	s_mov_b64 s[36:37], 0
	s_and_saveexec_b64 s[4:5], vcc
; %bb.31:                               ;   in Loop: Header=BB20_10 Depth=1
	s_mov_b64 s[34:35], exec
	s_and_b64 s[36:37], s[2:3], exec
; %bb.32:                               ;   in Loop: Header=BB20_10 Depth=1
	s_or_b64 exec, exec, s[4:5]
	s_mov_b32 s17, 2
	v_pk_mov_b32 v[8:9], v[2:3], v[2:3] op_sel:[0,1]
	v_mov_b32_e32 v7, s17
	s_and_saveexec_b64 s[2:3], s[36:37]
	s_cbranch_execz .LBB20_29
.LBB20_33:                              ;   in Loop: Header=BB20_10 Depth=1
	v_ashrrev_i32_e32 v7, 31, v6
	v_lshlrev_b64 v[8:9], 2, v[6:7]
	v_mov_b32_e32 v14, s15
	v_add_co_u32_e32 v8, vcc, s14, v8
	v_addc_co_u32_e32 v9, vcc, v14, v9, vcc
	global_load_dword v14, v[8:9], off glc
	s_waitcnt vmcnt(0)
	v_cmp_eq_u32_e32 vcc, 0, v14
	s_and_saveexec_b64 s[4:5], vcc
	s_cbranch_execz .LBB20_36
; %bb.34:                               ;   in Loop: Header=BB20_10 Depth=1
	s_mov_b64 s[36:37], 0
.LBB20_35:                              ;   Parent Loop BB20_10 Depth=1
                                        ; =>  This Inner Loop Header: Depth=2
	global_load_dword v14, v[8:9], off glc
	s_waitcnt vmcnt(0)
	v_cmp_ne_u32_e32 vcc, 0, v14
	s_or_b64 s[36:37], vcc, s[36:37]
	s_andn2_b64 exec, exec, s[36:37]
	s_cbranch_execnz .LBB20_35
.LBB20_36:                              ;   in Loop: Header=BB20_10 Depth=1
	s_or_b64 exec, exec, s[4:5]
	v_lshlrev_b64 v[6:7], 3, v[6:7]
	v_mov_b32_e32 v8, s13
	v_add_co_u32_e32 v6, vcc, s12, v6
	v_addc_co_u32_e32 v7, vcc, v8, v7, vcc
	s_waitcnt lgkmcnt(0)
	buffer_wbinvl1_vol
	global_load_dwordx2 v[8:9], v[6:7], off
	v_mov_b32_e32 v7, 0
	s_andn2_b64 s[34:35], s[34:35], exec
	s_waitcnt vmcnt(0)
	v_pk_fma_f32 v[14:15], v[4:5], v[8:9], v[2:3] op_sel_hi:[1,0,1] neg_lo:[1,0,0] neg_hi:[1,0,0]
	v_pk_fma_f32 v[8:9], v[4:5], v[8:9], v[14:15] op_sel:[1,1,0] op_sel_hi:[0,1,1] neg_hi:[1,0,0]
	s_or_b64 exec, exec, s[2:3]
	s_and_saveexec_b64 s[2:3], s[34:35]
	s_cbranch_execz .LBB20_40
.LBB20_37:                              ;   in Loop: Header=BB20_10 Depth=1
	s_and_b64 vcc, exec, s[0:1]
	s_cbranch_vccnz .LBB20_39
; %bb.38:                               ;   in Loop: Header=BB20_10 Depth=1
	v_mul_f32_e32 v6, v5, v5
	v_fmac_f32_e32 v6, v4, v4
	v_div_scale_f32 v7, s[4:5], v6, v6, 1.0
	v_rcp_f32_e32 v8, v7
	v_div_scale_f32 v9, vcc, 1.0, v6, 1.0
	v_fma_f32 v14, -v7, v8, 1.0
	v_fmac_f32_e32 v8, v14, v8
	v_mul_f32_e32 v14, v9, v8
	v_fma_f32 v15, -v7, v14, v9
	v_fmac_f32_e32 v14, v15, v8
	v_fma_f32 v7, -v7, v14, v9
	v_div_fmas_f32 v7, v7, v8, v14
	v_div_fixup_f32 v6, v7, v6, 1.0
	v_fma_f32 v8, 0, v5, v4
	v_fma_f32 v9, v4, 0, -v5
	v_pk_mul_f32 v[4:5], v[8:9], v[6:7] op_sel_hi:[1,0]
	v_mov_b32_e32 v6, s40
	ds_write_b64 v6, v[4:5]
.LBB20_39:                              ;   in Loop: Header=BB20_10 Depth=1
	v_mov_b32_e32 v7, 2
	v_pk_mov_b32 v[8:9], v[2:3], v[2:3] op_sel:[0,1]
.LBB20_40:                              ;   in Loop: Header=BB20_10 Depth=1
	s_or_b64 exec, exec, s[2:3]
	v_cmp_gt_i32_e32 vcc, 4, v7
	s_mov_b64 s[2:3], -1
	s_mov_b64 s[4:5], -1
	s_and_saveexec_b64 s[34:35], vcc
; %bb.41:                               ;   in Loop: Header=BB20_10 Depth=1
	v_cmp_eq_u32_e32 vcc, 0, v7
	s_orn2_b64 s[4:5], vcc, exec
; %bb.42:                               ;   in Loop: Header=BB20_10 Depth=1
	s_or_b64 exec, exec, s[34:35]
	s_and_saveexec_b64 s[34:35], s[4:5]
	s_cbranch_execz .LBB20_9
; %bb.43:                               ;   in Loop: Header=BB20_10 Depth=1
	v_add_co_u32_e32 v0, vcc, 64, v0
	v_addc_co_u32_e32 v1, vcc, 0, v1, vcc
	v_cmp_le_i64_e32 vcc, s[22:23], v[0:1]
	s_orn2_b64 s[2:3], vcc, exec
	s_branch .LBB20_9
.LBB20_44:
	s_or_b64 exec, exec, s[30:31]
	v_pk_mov_b32 v[2:3], v[8:9], v[8:9] op_sel:[0,1]
.LBB20_45:
	s_or_b64 exec, exec, s[24:25]
	s_nop 0
	v_mov_b32_dpp v0, v2 row_shr:1 row_mask:0xf bank_mask:0xf
	v_mov_b32_dpp v1, v3 row_shr:1 row_mask:0xf bank_mask:0xf
	v_pk_add_f32 v[0:1], v[2:3], v[0:1]
	s_cmp_lg_u32 s10, 0
	s_nop 0
	v_mov_b32_dpp v2, v0 row_shr:2 row_mask:0xf bank_mask:0xf
	v_mov_b32_dpp v3, v1 row_shr:2 row_mask:0xf bank_mask:0xf
	v_pk_add_f32 v[0:1], v[0:1], v[2:3]
	s_nop 1
	v_mov_b32_dpp v2, v0 row_shr:4 row_mask:0xf bank_mask:0xe
	v_mov_b32_dpp v3, v1 row_shr:4 row_mask:0xf bank_mask:0xe
	v_pk_add_f32 v[0:1], v[0:1], v[2:3]
	;; [unrolled: 4-line block ×3, first 2 shown]
	s_nop 1
	v_mov_b32_dpp v2, v0 row_bcast:15 row_mask:0xa bank_mask:0xf
	v_mov_b32_dpp v3, v1 row_bcast:15 row_mask:0xa bank_mask:0xf
	v_pk_add_f32 v[0:1], v[0:1], v[2:3]
	s_nop 1
	v_mov_b32_dpp v2, v0 row_bcast:31 row_mask:0xc bank_mask:0xf
	v_mov_b32_dpp v3, v1 row_bcast:31 row_mask:0xc bank_mask:0xf
	v_pk_add_f32 v[0:1], v[0:1], v[2:3]
	s_cbranch_scc0 .LBB20_49
; %bb.46:
	v_cmp_eq_u32_e32 vcc, 63, v10
	s_and_saveexec_b64 s[0:1], vcc
	s_cbranch_execz .LBB20_48
.LBB20_47:
	s_add_u32 s0, s12, s20
	s_addc_u32 s1, s13, s21
	s_lshl_b64 s[2:3], s[6:7], 2
	v_mov_b32_e32 v2, 0
	s_add_u32 s2, s14, s2
	s_addc_u32 s3, s15, s3
	global_store_dwordx2 v2, v[0:1], s[0:1] glc slc
	v_mov_b32_e32 v0, 1
	s_waitcnt vmcnt(0)
	global_store_dword v2, v0, s[2:3]
.LBB20_48:
	s_endpgm
.LBB20_49:
	s_lshl_b32 s0, s11, 3
	v_mov_b32_e32 v2, s0
	s_waitcnt lgkmcnt(0)
	ds_read_b64 v[2:3], v2
	s_waitcnt lgkmcnt(0)
	v_pk_mul_f32 v[4:5], v[2:3], v[0:1] op_sel:[1,1] op_sel_hi:[1,0] neg_lo:[0,1]
	v_pk_fma_f32 v[0:1], v[0:1], v[2:3], v[4:5] op_sel_hi:[1,0,1]
	v_cmp_eq_u32_e32 vcc, 63, v10
	s_and_saveexec_b64 s[0:1], vcc
	s_cbranch_execnz .LBB20_47
	s_branch .LBB20_48
	.section	.rodata,"a",@progbits
	.p2align	6, 0x0
	.amdhsa_kernel _ZN9rocsparseL12csrsv_kernelILj1024ELj64ELb0Eli21rocsparse_complex_numIfEEEvT3_NS_24const_host_device_scalarIT4_EEPKT2_PKS3_PKS5_SD_lPS5_PiSB_iPS3_21rocsparse_index_base_20rocsparse_fill_mode_20rocsparse_diag_type_b
		.amdhsa_group_segment_fixed_size 128
		.amdhsa_private_segment_fixed_size 0
		.amdhsa_kernarg_size 112
		.amdhsa_user_sgpr_count 6
		.amdhsa_user_sgpr_private_segment_buffer 1
		.amdhsa_user_sgpr_dispatch_ptr 0
		.amdhsa_user_sgpr_queue_ptr 0
		.amdhsa_user_sgpr_kernarg_segment_ptr 1
		.amdhsa_user_sgpr_dispatch_id 0
		.amdhsa_user_sgpr_flat_scratch_init 0
		.amdhsa_user_sgpr_kernarg_preload_length 0
		.amdhsa_user_sgpr_kernarg_preload_offset 0
		.amdhsa_user_sgpr_private_segment_size 0
		.amdhsa_uses_dynamic_stack 0
		.amdhsa_system_sgpr_private_segment_wavefront_offset 0
		.amdhsa_system_sgpr_workgroup_id_x 1
		.amdhsa_system_sgpr_workgroup_id_y 0
		.amdhsa_system_sgpr_workgroup_id_z 0
		.amdhsa_system_sgpr_workgroup_info 0
		.amdhsa_system_vgpr_workitem_id 0
		.amdhsa_next_free_vgpr 17
		.amdhsa_next_free_sgpr 41
		.amdhsa_accum_offset 20
		.amdhsa_reserve_vcc 1
		.amdhsa_reserve_flat_scratch 0
		.amdhsa_float_round_mode_32 0
		.amdhsa_float_round_mode_16_64 0
		.amdhsa_float_denorm_mode_32 3
		.amdhsa_float_denorm_mode_16_64 3
		.amdhsa_dx10_clamp 1
		.amdhsa_ieee_mode 1
		.amdhsa_fp16_overflow 0
		.amdhsa_tg_split 0
		.amdhsa_exception_fp_ieee_invalid_op 0
		.amdhsa_exception_fp_denorm_src 0
		.amdhsa_exception_fp_ieee_div_zero 0
		.amdhsa_exception_fp_ieee_overflow 0
		.amdhsa_exception_fp_ieee_underflow 0
		.amdhsa_exception_fp_ieee_inexact 0
		.amdhsa_exception_int_div_zero 0
	.end_amdhsa_kernel
	.section	.text._ZN9rocsparseL12csrsv_kernelILj1024ELj64ELb0Eli21rocsparse_complex_numIfEEEvT3_NS_24const_host_device_scalarIT4_EEPKT2_PKS3_PKS5_SD_lPS5_PiSB_iPS3_21rocsparse_index_base_20rocsparse_fill_mode_20rocsparse_diag_type_b,"axG",@progbits,_ZN9rocsparseL12csrsv_kernelILj1024ELj64ELb0Eli21rocsparse_complex_numIfEEEvT3_NS_24const_host_device_scalarIT4_EEPKT2_PKS3_PKS5_SD_lPS5_PiSB_iPS3_21rocsparse_index_base_20rocsparse_fill_mode_20rocsparse_diag_type_b,comdat
.Lfunc_end20:
	.size	_ZN9rocsparseL12csrsv_kernelILj1024ELj64ELb0Eli21rocsparse_complex_numIfEEEvT3_NS_24const_host_device_scalarIT4_EEPKT2_PKS3_PKS5_SD_lPS5_PiSB_iPS3_21rocsparse_index_base_20rocsparse_fill_mode_20rocsparse_diag_type_b, .Lfunc_end20-_ZN9rocsparseL12csrsv_kernelILj1024ELj64ELb0Eli21rocsparse_complex_numIfEEEvT3_NS_24const_host_device_scalarIT4_EEPKT2_PKS3_PKS5_SD_lPS5_PiSB_iPS3_21rocsparse_index_base_20rocsparse_fill_mode_20rocsparse_diag_type_b
                                        ; -- End function
	.section	.AMDGPU.csdata,"",@progbits
; Kernel info:
; codeLenInByte = 1644
; NumSgprs: 45
; NumVgprs: 17
; NumAgprs: 0
; TotalNumVgprs: 17
; ScratchSize: 0
; MemoryBound: 0
; FloatMode: 240
; IeeeMode: 1
; LDSByteSize: 128 bytes/workgroup (compile time only)
; SGPRBlocks: 5
; VGPRBlocks: 2
; NumSGPRsForWavesPerEU: 45
; NumVGPRsForWavesPerEU: 17
; AccumOffset: 20
; Occupancy: 8
; WaveLimiterHint : 1
; COMPUTE_PGM_RSRC2:SCRATCH_EN: 0
; COMPUTE_PGM_RSRC2:USER_SGPR: 6
; COMPUTE_PGM_RSRC2:TRAP_HANDLER: 0
; COMPUTE_PGM_RSRC2:TGID_X_EN: 1
; COMPUTE_PGM_RSRC2:TGID_Y_EN: 0
; COMPUTE_PGM_RSRC2:TGID_Z_EN: 0
; COMPUTE_PGM_RSRC2:TIDIG_COMP_CNT: 0
; COMPUTE_PGM_RSRC3_GFX90A:ACCUM_OFFSET: 4
; COMPUTE_PGM_RSRC3_GFX90A:TG_SPLIT: 0
	.section	.text._ZN9rocsparseL12csrsv_kernelILj1024ELj64ELb1Eli21rocsparse_complex_numIdEEEvT3_NS_24const_host_device_scalarIT4_EEPKT2_PKS3_PKS5_SD_lPS5_PiSB_iPS3_21rocsparse_index_base_20rocsparse_fill_mode_20rocsparse_diag_type_b,"axG",@progbits,_ZN9rocsparseL12csrsv_kernelILj1024ELj64ELb1Eli21rocsparse_complex_numIdEEEvT3_NS_24const_host_device_scalarIT4_EEPKT2_PKS3_PKS5_SD_lPS5_PiSB_iPS3_21rocsparse_index_base_20rocsparse_fill_mode_20rocsparse_diag_type_b,comdat
	.globl	_ZN9rocsparseL12csrsv_kernelILj1024ELj64ELb1Eli21rocsparse_complex_numIdEEEvT3_NS_24const_host_device_scalarIT4_EEPKT2_PKS3_PKS5_SD_lPS5_PiSB_iPS3_21rocsparse_index_base_20rocsparse_fill_mode_20rocsparse_diag_type_b ; -- Begin function _ZN9rocsparseL12csrsv_kernelILj1024ELj64ELb1Eli21rocsparse_complex_numIdEEEvT3_NS_24const_host_device_scalarIT4_EEPKT2_PKS3_PKS5_SD_lPS5_PiSB_iPS3_21rocsparse_index_base_20rocsparse_fill_mode_20rocsparse_diag_type_b
	.p2align	8
	.type	_ZN9rocsparseL12csrsv_kernelILj1024ELj64ELb1Eli21rocsparse_complex_numIdEEEvT3_NS_24const_host_device_scalarIT4_EEPKT2_PKS3_PKS5_SD_lPS5_PiSB_iPS3_21rocsparse_index_base_20rocsparse_fill_mode_20rocsparse_diag_type_b,@function
_ZN9rocsparseL12csrsv_kernelILj1024ELj64ELb1Eli21rocsparse_complex_numIdEEEvT3_NS_24const_host_device_scalarIT4_EEPKT2_PKS3_PKS5_SD_lPS5_PiSB_iPS3_21rocsparse_index_base_20rocsparse_fill_mode_20rocsparse_diag_type_b: ; @_ZN9rocsparseL12csrsv_kernelILj1024ELj64ELb1Eli21rocsparse_complex_numIdEEEvT3_NS_24const_host_device_scalarIT4_EEPKT2_PKS3_PKS5_SD_lPS5_PiSB_iPS3_21rocsparse_index_base_20rocsparse_fill_mode_20rocsparse_diag_type_b
; %bb.0:
	s_load_dwordx4 s[12:15], s[6:7], 0x68
	s_load_dwordx2 s[10:11], s[4:5], 0x4
	s_load_dwordx4 s[0:3], s[6:7], 0x8
	v_and_b32_e32 v4, 0x3ff, v0
	v_bfe_u32 v2, v0, 10, 10
	s_waitcnt lgkmcnt(0)
	s_and_b32 s4, 1, s15
	s_lshr_b32 s5, s10, 16
	s_mul_i32 s5, s5, s11
	v_mul_lo_u32 v1, s5, v4
	v_mad_u32_u24 v1, v2, s11, v1
	v_bfe_u32 v0, v0, 20, 10
	s_cmp_eq_u32 s4, 1
	v_add_lshl_u32 v2, v1, v0, 3
	v_add_u32_e32 v3, 0x100, v2
	v_pk_mov_b32 v[0:1], s[0:1], s[0:1] op_sel:[0,1]
	s_cselect_b64 vcc, -1, 0
	ds_write_b64 v2, v[0:1] offset:256
	s_mov_b64 s[4:5], src_shared_base
	v_cndmask_b32_e32 v0, v0, v3, vcc
	s_and_b64 vcc, vcc, exec
	s_cselect_b32 s4, s5, s1
	v_mov_b32_e32 v1, s4
	flat_load_dwordx2 v[0:1], v[0:1]
	v_pk_mov_b32 v[2:3], s[2:3], s[2:3] op_sel:[0,1]
	s_cbranch_vccnz .LBB21_2
; %bb.1:
	v_pk_mov_b32 v[2:3], s[0:1], s[0:1] op_sel:[0,1]
	flat_load_dwordx2 v[2:3], v[2:3] offset:8
.LBB21_2:
	s_load_dword s1, s[6:7], 0x0
	v_lshrrev_b32_e32 v5, 6, v4
	v_readfirstlane_b32 s15, v5
	s_lshl_b32 s0, s8, 4
	s_add_i32 s0, s15, s0
	s_waitcnt lgkmcnt(0)
	s_cmp_ge_i32 s0, s1
	s_cbranch_scc1 .LBB21_48
; %bb.3:
	s_load_dword s1, s[6:7], 0x58
	s_load_dwordx2 s[2:3], s[6:7], 0x50
	v_and_b32_e32 v16, 63, v4
	v_pk_mov_b32 v[8:9], 0, 0
	v_cmp_eq_u32_e32 vcc, 0, v16
	s_waitcnt lgkmcnt(0)
	s_add_i32 s0, s0, s1
	s_ashr_i32 s1, s0, 31
	s_lshl_b64 s[0:1], s[0:1], 2
	s_add_u32 s0, s2, s0
	s_addc_u32 s1, s3, s1
	s_load_dword s20, s[0:1], 0x0
	s_load_dwordx2 s[2:3], s[6:7], 0x18
	s_load_dwordx4 s[8:11], s[6:7], 0x40
	v_pk_mov_b32 v[4:5], v[8:9], v[8:9] op_sel:[0,1]
	s_waitcnt lgkmcnt(0)
	s_ashr_i32 s21, s20, 31
	s_lshl_b64 s[0:1], s[20:21], 3
	s_add_u32 s0, s2, s0
	s_addc_u32 s1, s3, s1
	s_load_dwordx4 s[0:3], s[0:1], 0x0
	s_and_saveexec_b64 s[4:5], vcc
	s_cbranch_execz .LBB21_5
; %bb.4:
	s_load_dwordx4 s[16:19], s[6:7], 0x30
	s_waitcnt lgkmcnt(0)
	s_mul_i32 s19, s20, s19
	s_mul_hi_u32 s22, s20, s18
	s_mul_i32 s23, s21, s18
	s_add_i32 s19, s22, s19
	s_mul_i32 s18, s20, s18
	s_add_i32 s19, s19, s23
	s_lshl_b64 s[18:19], s[18:19], 4
	s_add_u32 s16, s16, s18
	s_addc_u32 s17, s17, s19
	s_load_dwordx4 s[16:19], s[16:17], 0x0
	s_waitcnt vmcnt(0) lgkmcnt(0)
	v_mul_f64 v[8:9], s[18:19], -v[2:3]
	v_mul_f64 v[4:5], v[0:1], s[18:19]
	v_fmac_f64_e32 v[8:9], s[16:17], v[0:1]
	v_fmac_f64_e32 v[4:5], s[16:17], v[2:3]
.LBB21_5:
	s_or_b64 exec, exec, s[4:5]
	s_waitcnt lgkmcnt(0)
	s_sub_u32 s22, s2, s12
	s_waitcnt vmcnt(0)
	v_subrev_co_u32_e32 v0, vcc, s12, v16
	s_subb_u32 s23, s3, 0
	v_subb_co_u32_e64 v1, s[2:3], 0, 0, vcc
	v_mov_b32_e32 v2, s1
	v_add_co_u32_e32 v6, vcc, s0, v0
	v_addc_co_u32_e32 v7, vcc, v2, v1, vcc
	v_cmp_gt_i64_e32 vcc, s[22:23], v[6:7]
	s_and_saveexec_b64 s[24:25], vcc
	s_cbranch_execz .LBB21_45
; %bb.6:
	s_load_dwordx2 s[26:27], s[6:7], 0x60
	s_load_dwordx4 s[16:19], s[6:7], 0x20
	s_cmp_eq_u32 s14, 0
	s_cselect_b64 s[6:7], -1, 0
	v_cndmask_b32_e64 v0, 0, 1, s[6:7]
	s_add_i32 s33, s20, s12
	s_lshl_b32 s38, s15, 4
	s_mov_b64 s[28:29], 0
	s_waitcnt lgkmcnt(0)
	v_mov_b32_e32 v17, s17
	v_mov_b32_e32 v18, s19
	;; [unrolled: 1-line block ×3, first 2 shown]
	v_cmp_ne_u32_e64 s[0:1], 1, v0
	s_branch .LBB21_8
.LBB21_7:                               ;   in Loop: Header=BB21_8 Depth=1
	s_or_b64 exec, exec, s[30:31]
	s_and_b64 s[2:3], exec, s[2:3]
	s_or_b64 s[28:29], s[2:3], s[28:29]
	v_pk_mov_b32 v[4:5], v[12:13], v[12:13] op_sel:[0,1]
	v_pk_mov_b32 v[8:9], v[14:15], v[14:15] op_sel:[0,1]
	s_andn2_b64 exec, exec, s[28:29]
	s_cbranch_execz .LBB21_44
.LBB21_8:                               ; =>This Loop Header: Depth=1
                                        ;     Child Loop BB21_34 Depth 2
                                        ;       Child Loop BB21_35 Depth 3
	v_lshlrev_b64 v[0:1], 2, v[6:7]
	v_add_co_u32_e32 v0, vcc, s16, v0
	v_addc_co_u32_e32 v1, vcc, v17, v1, vcc
	global_load_dword v10, v[0:1], off glc slc
	v_lshlrev_b64 v[0:1], 4, v[6:7]
	v_add_co_u32_e32 v0, vcc, s18, v0
	v_addc_co_u32_e32 v1, vcc, v18, v1, vcc
	global_load_dwordx4 v[0:3], v[0:1], off glc slc
	s_waitcnt vmcnt(1)
	v_subrev_u32_e32 v10, s12, v10
	s_waitcnt vmcnt(0)
	v_cmp_eq_f64_e32 vcc, 0, v[0:1]
	v_cmp_eq_f64_e64 s[2:3], 0, v[2:3]
	s_and_b64 s[2:3], vcc, s[2:3]
	v_cmp_eq_u32_e32 vcc, s20, v10
	s_and_b64 s[2:3], s[2:3], vcc
	s_and_b64 s[2:3], s[6:7], s[2:3]
	s_and_saveexec_b64 s[4:5], s[2:3]
	s_cbranch_execz .LBB21_12
; %bb.9:                                ;   in Loop: Header=BB21_8 Depth=1
	v_mbcnt_lo_u32_b32 v0, exec_lo, 0
	v_mbcnt_hi_u32_b32 v0, exec_hi, v0
	v_cmp_eq_u32_e64 s[2:3], 0, v0
	s_and_saveexec_b64 s[30:31], s[2:3]
	s_cbranch_execz .LBB21_11
; %bb.10:                               ;   in Loop: Header=BB21_8 Depth=1
	v_mov_b32_e32 v0, s33
	global_atomic_smin v19, v0, s[26:27]
.LBB21_11:                              ;   in Loop: Header=BB21_8 Depth=1
	s_or_b64 exec, exec, s[30:31]
	v_mov_b32_e32 v0, 0
	v_mov_b32_e32 v1, 0x3ff00000
	v_pk_mov_b32 v[2:3], 0, 0
.LBB21_12:                              ;   in Loop: Header=BB21_8 Depth=1
	s_or_b64 exec, exec, s[4:5]
	v_cmp_ne_u32_e64 s[2:3], s20, v10
	s_cmp_lt_i32 s13, 1
	s_mov_b64 s[30:31], 0
	s_cbranch_scc1 .LBB21_21
; %bb.13:                               ;   in Loop: Header=BB21_8 Depth=1
	s_cmp_eq_u32 s13, 1
	s_cbranch_scc0 .LBB21_22
; %bb.14:                               ;   in Loop: Header=BB21_8 Depth=1
	v_cmp_le_i32_e64 s[4:5], s20, v10
	s_mov_b64 s[34:35], 0
	s_and_saveexec_b64 s[36:37], s[4:5]
	s_cbranch_execz .LBB21_20
; %bb.15:                               ;   in Loop: Header=BB21_8 Depth=1
	s_mov_b64 s[34:35], -1
	s_and_saveexec_b64 s[4:5], vcc
	s_xor_b64 s[4:5], exec, s[4:5]
	s_cbranch_execz .LBB21_19
; %bb.16:                               ;   in Loop: Header=BB21_8 Depth=1
	s_and_b64 vcc, exec, s[0:1]
	s_cbranch_vccnz .LBB21_18
; %bb.17:                               ;   in Loop: Header=BB21_8 Depth=1
	v_mul_f64 v[12:13], v[2:3], v[2:3]
	v_fmac_f64_e32 v[12:13], v[0:1], v[0:1]
	v_div_scale_f64 v[14:15], s[34:35], v[12:13], v[12:13], 1.0
	v_rcp_f64_e32 v[20:21], v[14:15]
	v_div_scale_f64 v[22:23], vcc, 1.0, v[12:13], 1.0
	v_mov_b32_e32 v11, s38
	v_fma_f64 v[24:25], -v[14:15], v[20:21], 1.0
	v_fmac_f64_e32 v[20:21], v[20:21], v[24:25]
	v_fma_f64 v[24:25], -v[14:15], v[20:21], 1.0
	v_fmac_f64_e32 v[20:21], v[20:21], v[24:25]
	v_mul_f64 v[24:25], v[22:23], v[20:21]
	v_fma_f64 v[14:15], -v[14:15], v[24:25], v[22:23]
	v_div_fmas_f64 v[14:15], v[14:15], v[20:21], v[24:25]
	v_div_fixup_f64 v[14:15], v[14:15], v[12:13], 1.0
	v_fma_f64 v[12:13], 0, v[2:3], v[0:1]
	v_fma_f64 v[20:21], v[0:1], 0, -v[2:3]
	v_mul_f64 v[12:13], v[12:13], v[14:15]
	v_mul_f64 v[14:15], v[20:21], v[14:15]
	ds_write_b128 v11, v[12:15]
.LBB21_18:                              ;   in Loop: Header=BB21_8 Depth=1
	s_xor_b64 s[34:35], exec, -1
.LBB21_19:                              ;   in Loop: Header=BB21_8 Depth=1
	s_or_b64 exec, exec, s[4:5]
	s_and_b64 s[34:35], s[34:35], exec
.LBB21_20:                              ;   in Loop: Header=BB21_8 Depth=1
	s_or_b64 exec, exec, s[36:37]
	s_mov_b32 s17, 4
	v_pk_mov_b32 v[12:13], v[4:5], v[4:5] op_sel:[0,1]
	v_pk_mov_b32 v[14:15], v[8:9], v[8:9] op_sel:[0,1]
	s_branch .LBB21_23
.LBB21_21:                              ;   in Loop: Header=BB21_8 Depth=1
	s_mov_b64 s[34:35], 0
                                        ; implicit-def: $sgpr17
                                        ; implicit-def: $vgpr12_vgpr13
                                        ; implicit-def: $vgpr14_vgpr15
	s_cbranch_execnz .LBB21_24
	s_branch .LBB21_26
.LBB21_22:                              ;   in Loop: Header=BB21_8 Depth=1
	s_mov_b64 s[34:35], -1
                                        ; implicit-def: $sgpr17
                                        ; implicit-def: $vgpr12_vgpr13
                                        ; implicit-def: $vgpr14_vgpr15
.LBB21_23:                              ;   in Loop: Header=BB21_8 Depth=1
	s_branch .LBB21_26
.LBB21_24:                              ;   in Loop: Header=BB21_8 Depth=1
	s_cmp_eq_u32 s13, 0
	s_cbranch_scc1 .LBB21_28
; %bb.25:                               ;   in Loop: Header=BB21_8 Depth=1
	s_mov_b64 s[34:35], -1
                                        ; implicit-def: $sgpr17
                                        ; implicit-def: $vgpr12_vgpr13
                                        ; implicit-def: $vgpr14_vgpr15
.LBB21_26:                              ;   in Loop: Header=BB21_8 Depth=1
	v_mov_b32_e32 v11, s17
	s_and_saveexec_b64 s[2:3], s[34:35]
	s_cbranch_execnz .LBB21_31
.LBB21_27:                              ;   in Loop: Header=BB21_8 Depth=1
	s_or_b64 exec, exec, s[2:3]
	s_and_saveexec_b64 s[2:3], s[30:31]
	s_cbranch_execnz .LBB21_37
	s_branch .LBB21_40
.LBB21_28:                              ;   in Loop: Header=BB21_8 Depth=1
	v_cmp_ge_i32_e32 vcc, s20, v10
	s_mov_b64 s[34:35], 0
	s_and_saveexec_b64 s[4:5], vcc
; %bb.29:                               ;   in Loop: Header=BB21_8 Depth=1
	s_mov_b64 s[30:31], exec
	s_and_b64 s[34:35], s[2:3], exec
; %bb.30:                               ;   in Loop: Header=BB21_8 Depth=1
	s_or_b64 exec, exec, s[4:5]
	s_mov_b32 s17, 2
	v_pk_mov_b32 v[12:13], v[4:5], v[4:5] op_sel:[0,1]
	v_pk_mov_b32 v[14:15], v[8:9], v[8:9] op_sel:[0,1]
	v_mov_b32_e32 v11, s17
	s_and_saveexec_b64 s[2:3], s[34:35]
	s_cbranch_execz .LBB21_27
.LBB21_31:                              ;   in Loop: Header=BB21_8 Depth=1
	v_ashrrev_i32_e32 v11, 31, v10
	v_lshlrev_b64 v[12:13], 2, v[10:11]
	v_mov_b32_e32 v14, s11
	v_add_co_u32_e32 v12, vcc, s10, v12
	v_addc_co_u32_e32 v13, vcc, v14, v13, vcc
	global_load_dword v14, v[12:13], off glc
	s_waitcnt vmcnt(0)
	v_cmp_eq_u32_e32 vcc, 0, v14
	s_and_saveexec_b64 s[4:5], vcc
	s_cbranch_execz .LBB21_36
; %bb.32:                               ;   in Loop: Header=BB21_8 Depth=1
	s_mov_b32 s17, 0
	s_mov_b64 s[34:35], 0
	s_branch .LBB21_34
.LBB21_33:                              ;   in Loop: Header=BB21_34 Depth=2
	global_load_dword v14, v[12:13], off glc
	s_cmpk_lt_u32 s17, 0xf43
	s_cselect_b64 s[36:37], -1, 0
	s_cmp_lg_u64 s[36:37], 0
	s_addc_u32 s17, s17, 0
	s_waitcnt vmcnt(0)
	v_cmp_ne_u32_e32 vcc, 0, v14
	s_or_b64 s[34:35], vcc, s[34:35]
	s_andn2_b64 exec, exec, s[34:35]
	s_cbranch_execz .LBB21_36
.LBB21_34:                              ;   Parent Loop BB21_8 Depth=1
                                        ; =>  This Loop Header: Depth=2
                                        ;       Child Loop BB21_35 Depth 3
	s_cmp_eq_u32 s17, 0
	s_mov_b32 s19, s17
	s_cbranch_scc1 .LBB21_33
.LBB21_35:                              ;   Parent Loop BB21_8 Depth=1
                                        ;     Parent Loop BB21_34 Depth=2
                                        ; =>    This Inner Loop Header: Depth=3
	s_add_i32 s19, s19, -1
	s_cmp_eq_u32 s19, 0
	s_sleep 1
	s_cbranch_scc0 .LBB21_35
	s_branch .LBB21_33
.LBB21_36:                              ;   in Loop: Header=BB21_8 Depth=1
	s_or_b64 exec, exec, s[4:5]
	v_lshlrev_b64 v[10:11], 4, v[10:11]
	v_mov_b32_e32 v12, s9
	v_add_co_u32_e32 v10, vcc, s8, v10
	v_addc_co_u32_e32 v11, vcc, v12, v11, vcc
	s_waitcnt lgkmcnt(0)
	buffer_wbinvl1_vol
	global_load_dwordx4 v[20:23], v[10:11], off
	v_mov_b32_e32 v11, 0
	s_andn2_b64 s[30:31], s[30:31], exec
	s_waitcnt vmcnt(0)
	v_fma_f64 v[14:15], -v[0:1], v[20:21], v[8:9]
	v_fma_f64 v[12:13], -v[2:3], v[20:21], v[4:5]
	v_fmac_f64_e32 v[14:15], v[2:3], v[22:23]
	v_fma_f64 v[12:13], -v[0:1], v[22:23], v[12:13]
	s_or_b64 exec, exec, s[2:3]
	s_and_saveexec_b64 s[2:3], s[30:31]
	s_cbranch_execz .LBB21_40
.LBB21_37:                              ;   in Loop: Header=BB21_8 Depth=1
	s_and_b64 vcc, exec, s[0:1]
	s_cbranch_vccnz .LBB21_39
; %bb.38:                               ;   in Loop: Header=BB21_8 Depth=1
	v_mul_f64 v[10:11], v[2:3], v[2:3]
	v_fmac_f64_e32 v[10:11], v[0:1], v[0:1]
	v_div_scale_f64 v[12:13], s[4:5], v[10:11], v[10:11], 1.0
	v_rcp_f64_e32 v[14:15], v[12:13]
	v_div_scale_f64 v[20:21], vcc, 1.0, v[10:11], 1.0
	v_fma_f64 v[22:23], -v[12:13], v[14:15], 1.0
	v_fmac_f64_e32 v[14:15], v[14:15], v[22:23]
	v_fma_f64 v[22:23], -v[12:13], v[14:15], 1.0
	v_fmac_f64_e32 v[14:15], v[14:15], v[22:23]
	v_mul_f64 v[22:23], v[20:21], v[14:15]
	v_fma_f64 v[12:13], -v[12:13], v[22:23], v[20:21]
	v_div_fmas_f64 v[12:13], v[12:13], v[14:15], v[22:23]
	v_div_fixup_f64 v[12:13], v[12:13], v[10:11], 1.0
	v_fma_f64 v[10:11], 0, v[2:3], v[0:1]
	v_fma_f64 v[0:1], v[0:1], 0, -v[2:3]
	v_mul_f64 v[10:11], v[10:11], v[12:13]
	v_mul_f64 v[12:13], v[0:1], v[12:13]
	v_mov_b32_e32 v0, s38
	ds_write_b128 v0, v[10:13]
.LBB21_39:                              ;   in Loop: Header=BB21_8 Depth=1
	v_mov_b32_e32 v11, 2
	v_pk_mov_b32 v[14:15], v[8:9], v[8:9] op_sel:[0,1]
	v_pk_mov_b32 v[12:13], v[4:5], v[4:5] op_sel:[0,1]
.LBB21_40:                              ;   in Loop: Header=BB21_8 Depth=1
	s_or_b64 exec, exec, s[2:3]
	v_cmp_gt_i32_e32 vcc, 4, v11
	s_mov_b64 s[2:3], -1
	s_mov_b64 s[4:5], -1
	s_and_saveexec_b64 s[30:31], vcc
; %bb.41:                               ;   in Loop: Header=BB21_8 Depth=1
	v_cmp_eq_u32_e32 vcc, 0, v11
	s_orn2_b64 s[4:5], vcc, exec
; %bb.42:                               ;   in Loop: Header=BB21_8 Depth=1
	s_or_b64 exec, exec, s[30:31]
	s_and_saveexec_b64 s[30:31], s[4:5]
	s_cbranch_execz .LBB21_7
; %bb.43:                               ;   in Loop: Header=BB21_8 Depth=1
	v_add_co_u32_e32 v6, vcc, 64, v6
	v_addc_co_u32_e32 v7, vcc, 0, v7, vcc
	v_cmp_le_i64_e32 vcc, s[22:23], v[6:7]
	s_orn2_b64 s[2:3], vcc, exec
	s_branch .LBB21_7
.LBB21_44:
	s_or_b64 exec, exec, s[28:29]
	v_pk_mov_b32 v[4:5], v[12:13], v[12:13] op_sel:[0,1]
	v_pk_mov_b32 v[8:9], v[14:15], v[14:15] op_sel:[0,1]
.LBB21_45:
	s_or_b64 exec, exec, s[24:25]
	s_nop 0
	v_mov_b32_dpp v0, v8 row_shr:1 row_mask:0xf bank_mask:0xf
	v_mov_b32_dpp v1, v9 row_shr:1 row_mask:0xf bank_mask:0xf
	v_add_f64 v[0:1], v[8:9], v[0:1]
	s_cmp_lg_u32 s14, 0
	s_nop 0
	v_mov_b32_dpp v2, v0 row_shr:2 row_mask:0xf bank_mask:0xf
	v_mov_b32_dpp v3, v1 row_shr:2 row_mask:0xf bank_mask:0xf
	v_add_f64 v[0:1], v[0:1], v[2:3]
	s_nop 1
	v_mov_b32_dpp v2, v0 row_shr:4 row_mask:0xf bank_mask:0xe
	v_mov_b32_dpp v3, v1 row_shr:4 row_mask:0xf bank_mask:0xe
	v_add_f64 v[0:1], v[0:1], v[2:3]
	;; [unrolled: 4-line block ×3, first 2 shown]
	s_nop 1
	v_mov_b32_dpp v2, v0 row_bcast:15 row_mask:0xa bank_mask:0xf
	v_mov_b32_dpp v3, v1 row_bcast:15 row_mask:0xa bank_mask:0xf
	v_add_f64 v[0:1], v[0:1], v[2:3]
	s_nop 1
	v_mov_b32_dpp v2, v0 row_bcast:31 row_mask:0xc bank_mask:0xf
	v_mov_b32_dpp v3, v1 row_bcast:31 row_mask:0xc bank_mask:0xf
	v_add_f64 v[0:1], v[0:1], v[2:3]
	v_mov_b32_dpp v2, v4 row_shr:1 row_mask:0xf bank_mask:0xf
	v_mov_b32_dpp v3, v5 row_shr:1 row_mask:0xf bank_mask:0xf
	v_add_f64 v[2:3], v[4:5], v[2:3]
	s_nop 1
	v_mov_b32_dpp v4, v2 row_shr:2 row_mask:0xf bank_mask:0xf
	v_mov_b32_dpp v5, v3 row_shr:2 row_mask:0xf bank_mask:0xf
	v_add_f64 v[2:3], v[2:3], v[4:5]
	s_nop 1
	;; [unrolled: 4-line block ×4, first 2 shown]
	v_mov_b32_dpp v4, v2 row_bcast:15 row_mask:0xa bank_mask:0xf
	v_mov_b32_dpp v5, v3 row_bcast:15 row_mask:0xa bank_mask:0xf
	v_add_f64 v[2:3], v[2:3], v[4:5]
	s_nop 1
	v_mov_b32_dpp v4, v2 row_bcast:31 row_mask:0xc bank_mask:0xf
	v_mov_b32_dpp v5, v3 row_bcast:31 row_mask:0xc bank_mask:0xf
	v_add_f64 v[2:3], v[2:3], v[4:5]
	s_cbranch_scc0 .LBB21_49
; %bb.46:
	v_cmp_eq_u32_e32 vcc, 63, v16
	s_and_saveexec_b64 s[0:1], vcc
	s_cbranch_execz .LBB21_48
.LBB21_47:
	s_lshl_b64 s[0:1], s[20:21], 4
	s_add_u32 s0, s8, s0
	s_addc_u32 s1, s9, s1
	s_lshl_b64 s[2:3], s[20:21], 2
	v_mov_b32_e32 v4, 0
	s_add_u32 s2, s10, s2
	s_addc_u32 s3, s11, s3
	global_store_dwordx4 v4, v[0:3], s[0:1] glc slc
	s_nop 0
	v_mov_b32_e32 v0, 1
	s_waitcnt vmcnt(0)
	global_store_dword v4, v0, s[2:3]
.LBB21_48:
	s_endpgm
.LBB21_49:
	s_lshl_b32 s0, s15, 4
	v_mov_b32_e32 v4, s0
	s_waitcnt lgkmcnt(0)
	ds_read_b128 v[4:7], v4
	s_waitcnt lgkmcnt(0)
	v_mul_f64 v[8:9], v[6:7], -v[2:3]
	v_mul_f64 v[6:7], v[0:1], v[6:7]
	v_fmac_f64_e32 v[8:9], v[0:1], v[4:5]
	v_fmac_f64_e32 v[6:7], v[2:3], v[4:5]
	v_pk_mov_b32 v[0:1], v[8:9], v[8:9] op_sel:[0,1]
	v_pk_mov_b32 v[2:3], v[6:7], v[6:7] op_sel:[0,1]
	v_cmp_eq_u32_e32 vcc, 63, v16
	s_and_saveexec_b64 s[0:1], vcc
	s_cbranch_execnz .LBB21_47
	s_branch .LBB21_48
	.section	.rodata,"a",@progbits
	.p2align	6, 0x0
	.amdhsa_kernel _ZN9rocsparseL12csrsv_kernelILj1024ELj64ELb1Eli21rocsparse_complex_numIdEEEvT3_NS_24const_host_device_scalarIT4_EEPKT2_PKS3_PKS5_SD_lPS5_PiSB_iPS3_21rocsparse_index_base_20rocsparse_fill_mode_20rocsparse_diag_type_b
		.amdhsa_group_segment_fixed_size 8448
		.amdhsa_private_segment_fixed_size 0
		.amdhsa_kernarg_size 120
		.amdhsa_user_sgpr_count 8
		.amdhsa_user_sgpr_private_segment_buffer 1
		.amdhsa_user_sgpr_dispatch_ptr 1
		.amdhsa_user_sgpr_queue_ptr 0
		.amdhsa_user_sgpr_kernarg_segment_ptr 1
		.amdhsa_user_sgpr_dispatch_id 0
		.amdhsa_user_sgpr_flat_scratch_init 0
		.amdhsa_user_sgpr_kernarg_preload_length 0
		.amdhsa_user_sgpr_kernarg_preload_offset 0
		.amdhsa_user_sgpr_private_segment_size 0
		.amdhsa_uses_dynamic_stack 0
		.amdhsa_system_sgpr_private_segment_wavefront_offset 0
		.amdhsa_system_sgpr_workgroup_id_x 1
		.amdhsa_system_sgpr_workgroup_id_y 0
		.amdhsa_system_sgpr_workgroup_id_z 0
		.amdhsa_system_sgpr_workgroup_info 0
		.amdhsa_system_vgpr_workitem_id 2
		.amdhsa_next_free_vgpr 26
		.amdhsa_next_free_sgpr 39
		.amdhsa_accum_offset 28
		.amdhsa_reserve_vcc 1
		.amdhsa_reserve_flat_scratch 0
		.amdhsa_float_round_mode_32 0
		.amdhsa_float_round_mode_16_64 0
		.amdhsa_float_denorm_mode_32 3
		.amdhsa_float_denorm_mode_16_64 3
		.amdhsa_dx10_clamp 1
		.amdhsa_ieee_mode 1
		.amdhsa_fp16_overflow 0
		.amdhsa_tg_split 0
		.amdhsa_exception_fp_ieee_invalid_op 0
		.amdhsa_exception_fp_denorm_src 0
		.amdhsa_exception_fp_ieee_div_zero 0
		.amdhsa_exception_fp_ieee_overflow 0
		.amdhsa_exception_fp_ieee_underflow 0
		.amdhsa_exception_fp_ieee_inexact 0
		.amdhsa_exception_int_div_zero 0
	.end_amdhsa_kernel
	.section	.text._ZN9rocsparseL12csrsv_kernelILj1024ELj64ELb1Eli21rocsparse_complex_numIdEEEvT3_NS_24const_host_device_scalarIT4_EEPKT2_PKS3_PKS5_SD_lPS5_PiSB_iPS3_21rocsparse_index_base_20rocsparse_fill_mode_20rocsparse_diag_type_b,"axG",@progbits,_ZN9rocsparseL12csrsv_kernelILj1024ELj64ELb1Eli21rocsparse_complex_numIdEEEvT3_NS_24const_host_device_scalarIT4_EEPKT2_PKS3_PKS5_SD_lPS5_PiSB_iPS3_21rocsparse_index_base_20rocsparse_fill_mode_20rocsparse_diag_type_b,comdat
.Lfunc_end21:
	.size	_ZN9rocsparseL12csrsv_kernelILj1024ELj64ELb1Eli21rocsparse_complex_numIdEEEvT3_NS_24const_host_device_scalarIT4_EEPKT2_PKS3_PKS5_SD_lPS5_PiSB_iPS3_21rocsparse_index_base_20rocsparse_fill_mode_20rocsparse_diag_type_b, .Lfunc_end21-_ZN9rocsparseL12csrsv_kernelILj1024ELj64ELb1Eli21rocsparse_complex_numIdEEEvT3_NS_24const_host_device_scalarIT4_EEPKT2_PKS3_PKS5_SD_lPS5_PiSB_iPS3_21rocsparse_index_base_20rocsparse_fill_mode_20rocsparse_diag_type_b
                                        ; -- End function
	.section	.AMDGPU.csdata,"",@progbits
; Kernel info:
; codeLenInByte = 2080
; NumSgprs: 43
; NumVgprs: 26
; NumAgprs: 0
; TotalNumVgprs: 26
; ScratchSize: 0
; MemoryBound: 0
; FloatMode: 240
; IeeeMode: 1
; LDSByteSize: 8448 bytes/workgroup (compile time only)
; SGPRBlocks: 5
; VGPRBlocks: 3
; NumSGPRsForWavesPerEU: 43
; NumVGPRsForWavesPerEU: 26
; AccumOffset: 28
; Occupancy: 8
; WaveLimiterHint : 1
; COMPUTE_PGM_RSRC2:SCRATCH_EN: 0
; COMPUTE_PGM_RSRC2:USER_SGPR: 8
; COMPUTE_PGM_RSRC2:TRAP_HANDLER: 0
; COMPUTE_PGM_RSRC2:TGID_X_EN: 1
; COMPUTE_PGM_RSRC2:TGID_Y_EN: 0
; COMPUTE_PGM_RSRC2:TGID_Z_EN: 0
; COMPUTE_PGM_RSRC2:TIDIG_COMP_CNT: 2
; COMPUTE_PGM_RSRC3_GFX90A:ACCUM_OFFSET: 6
; COMPUTE_PGM_RSRC3_GFX90A:TG_SPLIT: 0
	.section	.text._ZN9rocsparseL12csrsv_kernelILj1024ELj32ELb0Eli21rocsparse_complex_numIdEEEvT3_NS_24const_host_device_scalarIT4_EEPKT2_PKS3_PKS5_SD_lPS5_PiSB_iPS3_21rocsparse_index_base_20rocsparse_fill_mode_20rocsparse_diag_type_b,"axG",@progbits,_ZN9rocsparseL12csrsv_kernelILj1024ELj32ELb0Eli21rocsparse_complex_numIdEEEvT3_NS_24const_host_device_scalarIT4_EEPKT2_PKS3_PKS5_SD_lPS5_PiSB_iPS3_21rocsparse_index_base_20rocsparse_fill_mode_20rocsparse_diag_type_b,comdat
	.globl	_ZN9rocsparseL12csrsv_kernelILj1024ELj32ELb0Eli21rocsparse_complex_numIdEEEvT3_NS_24const_host_device_scalarIT4_EEPKT2_PKS3_PKS5_SD_lPS5_PiSB_iPS3_21rocsparse_index_base_20rocsparse_fill_mode_20rocsparse_diag_type_b ; -- Begin function _ZN9rocsparseL12csrsv_kernelILj1024ELj32ELb0Eli21rocsparse_complex_numIdEEEvT3_NS_24const_host_device_scalarIT4_EEPKT2_PKS3_PKS5_SD_lPS5_PiSB_iPS3_21rocsparse_index_base_20rocsparse_fill_mode_20rocsparse_diag_type_b
	.p2align	8
	.type	_ZN9rocsparseL12csrsv_kernelILj1024ELj32ELb0Eli21rocsparse_complex_numIdEEEvT3_NS_24const_host_device_scalarIT4_EEPKT2_PKS3_PKS5_SD_lPS5_PiSB_iPS3_21rocsparse_index_base_20rocsparse_fill_mode_20rocsparse_diag_type_b,@function
_ZN9rocsparseL12csrsv_kernelILj1024ELj32ELb0Eli21rocsparse_complex_numIdEEEvT3_NS_24const_host_device_scalarIT4_EEPKT2_PKS3_PKS5_SD_lPS5_PiSB_iPS3_21rocsparse_index_base_20rocsparse_fill_mode_20rocsparse_diag_type_b: ; @_ZN9rocsparseL12csrsv_kernelILj1024ELj32ELb0Eli21rocsparse_complex_numIdEEEvT3_NS_24const_host_device_scalarIT4_EEPKT2_PKS3_PKS5_SD_lPS5_PiSB_iPS3_21rocsparse_index_base_20rocsparse_fill_mode_20rocsparse_diag_type_b
; %bb.0:
	s_load_dwordx4 s[12:15], s[6:7], 0x68
	s_load_dwordx2 s[10:11], s[4:5], 0x4
	s_load_dwordx4 s[0:3], s[6:7], 0x8
	v_and_b32_e32 v4, 0x3ff, v0
	v_bfe_u32 v2, v0, 10, 10
	s_waitcnt lgkmcnt(0)
	s_and_b32 s4, 1, s15
	s_lshr_b32 s5, s10, 16
	s_mul_i32 s5, s5, s11
	v_mul_lo_u32 v1, s5, v4
	v_mad_u32_u24 v1, v2, s11, v1
	v_bfe_u32 v0, v0, 20, 10
	s_cmp_eq_u32 s4, 1
	v_add_lshl_u32 v2, v1, v0, 3
	v_add_u32_e32 v3, 0x200, v2
	v_pk_mov_b32 v[0:1], s[0:1], s[0:1] op_sel:[0,1]
	s_cselect_b64 vcc, -1, 0
	ds_write_b64 v2, v[0:1] offset:512
	s_mov_b64 s[4:5], src_shared_base
	v_cndmask_b32_e32 v0, v0, v3, vcc
	s_and_b64 vcc, vcc, exec
	s_cselect_b32 s4, s5, s1
	v_mov_b32_e32 v1, s4
	flat_load_dwordx2 v[0:1], v[0:1]
	v_pk_mov_b32 v[2:3], s[2:3], s[2:3] op_sel:[0,1]
	s_cbranch_vccnz .LBB22_2
; %bb.1:
	v_pk_mov_b32 v[2:3], s[0:1], s[0:1] op_sel:[0,1]
	flat_load_dwordx2 v[2:3], v[2:3] offset:8
.LBB22_2:
	s_load_dword s1, s[6:7], 0x0
	v_lshrrev_b32_e32 v5, 5, v4
	v_readfirstlane_b32 s15, v5
	s_lshl_b32 s0, s8, 5
	s_add_i32 s0, s15, s0
	s_waitcnt lgkmcnt(0)
	s_cmp_ge_i32 s0, s1
	s_cbranch_scc1 .LBB22_46
; %bb.3:
	s_load_dword s1, s[6:7], 0x58
	s_load_dwordx2 s[2:3], s[6:7], 0x50
	v_and_b32_e32 v16, 31, v4
	v_pk_mov_b32 v[8:9], 0, 0
	v_cmp_eq_u32_e32 vcc, 0, v16
	s_waitcnt lgkmcnt(0)
	s_add_i32 s0, s0, s1
	s_ashr_i32 s1, s0, 31
	s_lshl_b64 s[0:1], s[0:1], 2
	s_add_u32 s0, s2, s0
	s_addc_u32 s1, s3, s1
	s_load_dword s20, s[0:1], 0x0
	s_load_dwordx2 s[2:3], s[6:7], 0x18
	s_load_dwordx4 s[8:11], s[6:7], 0x40
	v_pk_mov_b32 v[6:7], v[8:9], v[8:9] op_sel:[0,1]
	s_waitcnt lgkmcnt(0)
	s_ashr_i32 s21, s20, 31
	s_lshl_b64 s[0:1], s[20:21], 3
	s_add_u32 s0, s2, s0
	s_addc_u32 s1, s3, s1
	s_load_dwordx4 s[0:3], s[0:1], 0x0
	s_and_saveexec_b64 s[4:5], vcc
	s_cbranch_execz .LBB22_5
; %bb.4:
	s_load_dwordx4 s[16:19], s[6:7], 0x30
	s_waitcnt lgkmcnt(0)
	s_mul_i32 s19, s20, s19
	s_mul_hi_u32 s22, s20, s18
	s_mul_i32 s23, s21, s18
	s_add_i32 s19, s22, s19
	s_mul_i32 s18, s20, s18
	s_add_i32 s19, s19, s23
	s_lshl_b64 s[18:19], s[18:19], 4
	s_add_u32 s16, s16, s18
	s_addc_u32 s17, s17, s19
	s_load_dwordx4 s[16:19], s[16:17], 0x0
	s_waitcnt vmcnt(0) lgkmcnt(0)
	v_mul_f64 v[8:9], s[18:19], -v[2:3]
	v_mul_f64 v[6:7], v[0:1], s[18:19]
	v_fmac_f64_e32 v[8:9], s[16:17], v[0:1]
	v_fmac_f64_e32 v[6:7], s[16:17], v[2:3]
.LBB22_5:
	s_or_b64 exec, exec, s[4:5]
	s_waitcnt lgkmcnt(0)
	s_sub_u32 s22, s2, s12
	s_waitcnt vmcnt(0)
	v_subrev_co_u32_e32 v0, vcc, s12, v16
	s_subb_u32 s23, s3, 0
	v_subb_co_u32_e64 v1, s[2:3], 0, 0, vcc
	v_mov_b32_e32 v2, s1
	v_add_co_u32_e32 v4, vcc, s0, v0
	v_addc_co_u32_e32 v5, vcc, v2, v1, vcc
	v_cmp_gt_i64_e32 vcc, s[22:23], v[4:5]
	s_and_saveexec_b64 s[24:25], vcc
	s_cbranch_execz .LBB22_43
; %bb.6:
	s_load_dwordx2 s[26:27], s[6:7], 0x60
	s_load_dwordx4 s[16:19], s[6:7], 0x20
	s_cmp_eq_u32 s14, 0
	s_cselect_b64 s[6:7], -1, 0
	v_cndmask_b32_e64 v0, 0, 1, s[6:7]
	s_add_i32 s33, s20, s12
	s_lshl_b32 s38, s15, 4
	s_mov_b64 s[28:29], 0
	s_waitcnt lgkmcnt(0)
	v_mov_b32_e32 v17, s17
	v_mov_b32_e32 v18, s19
	;; [unrolled: 1-line block ×3, first 2 shown]
	v_cmp_ne_u32_e64 s[0:1], 1, v0
	s_branch .LBB22_8
.LBB22_7:                               ;   in Loop: Header=BB22_8 Depth=1
	s_or_b64 exec, exec, s[30:31]
	s_and_b64 s[2:3], exec, s[2:3]
	s_or_b64 s[28:29], s[2:3], s[28:29]
	v_pk_mov_b32 v[6:7], v[12:13], v[12:13] op_sel:[0,1]
	v_pk_mov_b32 v[8:9], v[14:15], v[14:15] op_sel:[0,1]
	s_andn2_b64 exec, exec, s[28:29]
	s_cbranch_execz .LBB22_42
.LBB22_8:                               ; =>This Loop Header: Depth=1
                                        ;     Child Loop BB22_33 Depth 2
	v_lshlrev_b64 v[0:1], 2, v[4:5]
	v_add_co_u32_e32 v0, vcc, s16, v0
	v_addc_co_u32_e32 v1, vcc, v17, v1, vcc
	global_load_dword v10, v[0:1], off glc slc
	v_lshlrev_b64 v[0:1], 4, v[4:5]
	v_add_co_u32_e32 v0, vcc, s18, v0
	v_addc_co_u32_e32 v1, vcc, v18, v1, vcc
	global_load_dwordx4 v[0:3], v[0:1], off glc slc
	s_waitcnt vmcnt(1)
	v_subrev_u32_e32 v10, s12, v10
	s_waitcnt vmcnt(0)
	v_cmp_eq_f64_e32 vcc, 0, v[0:1]
	v_cmp_eq_f64_e64 s[2:3], 0, v[2:3]
	s_and_b64 s[2:3], vcc, s[2:3]
	v_cmp_eq_u32_e32 vcc, s20, v10
	s_and_b64 s[2:3], s[2:3], vcc
	s_and_b64 s[2:3], s[6:7], s[2:3]
	s_and_saveexec_b64 s[4:5], s[2:3]
	s_cbranch_execz .LBB22_12
; %bb.9:                                ;   in Loop: Header=BB22_8 Depth=1
	v_mbcnt_lo_u32_b32 v0, exec_lo, 0
	v_mbcnt_hi_u32_b32 v0, exec_hi, v0
	v_cmp_eq_u32_e64 s[2:3], 0, v0
	s_and_saveexec_b64 s[30:31], s[2:3]
	s_cbranch_execz .LBB22_11
; %bb.10:                               ;   in Loop: Header=BB22_8 Depth=1
	v_mov_b32_e32 v0, s33
	global_atomic_smin v19, v0, s[26:27]
.LBB22_11:                              ;   in Loop: Header=BB22_8 Depth=1
	s_or_b64 exec, exec, s[30:31]
	v_mov_b32_e32 v0, 0
	v_mov_b32_e32 v1, 0x3ff00000
	v_pk_mov_b32 v[2:3], 0, 0
.LBB22_12:                              ;   in Loop: Header=BB22_8 Depth=1
	s_or_b64 exec, exec, s[4:5]
	v_cmp_ne_u32_e64 s[2:3], s20, v10
	s_cmp_lt_i32 s13, 1
	s_mov_b64 s[30:31], 0
	s_cbranch_scc1 .LBB22_21
; %bb.13:                               ;   in Loop: Header=BB22_8 Depth=1
	s_cmp_eq_u32 s13, 1
	s_cbranch_scc0 .LBB22_22
; %bb.14:                               ;   in Loop: Header=BB22_8 Depth=1
	v_cmp_le_i32_e64 s[4:5], s20, v10
	s_mov_b64 s[34:35], 0
	s_and_saveexec_b64 s[36:37], s[4:5]
	s_cbranch_execz .LBB22_20
; %bb.15:                               ;   in Loop: Header=BB22_8 Depth=1
	s_mov_b64 s[34:35], -1
	s_and_saveexec_b64 s[4:5], vcc
	s_xor_b64 s[4:5], exec, s[4:5]
	s_cbranch_execz .LBB22_19
; %bb.16:                               ;   in Loop: Header=BB22_8 Depth=1
	s_and_b64 vcc, exec, s[0:1]
	s_cbranch_vccnz .LBB22_18
; %bb.17:                               ;   in Loop: Header=BB22_8 Depth=1
	v_mul_f64 v[12:13], v[2:3], v[2:3]
	v_fmac_f64_e32 v[12:13], v[0:1], v[0:1]
	v_div_scale_f64 v[14:15], s[34:35], v[12:13], v[12:13], 1.0
	v_rcp_f64_e32 v[20:21], v[14:15]
	v_div_scale_f64 v[22:23], vcc, 1.0, v[12:13], 1.0
	v_mov_b32_e32 v11, s38
	v_fma_f64 v[24:25], -v[14:15], v[20:21], 1.0
	v_fmac_f64_e32 v[20:21], v[20:21], v[24:25]
	v_fma_f64 v[24:25], -v[14:15], v[20:21], 1.0
	v_fmac_f64_e32 v[20:21], v[20:21], v[24:25]
	v_mul_f64 v[24:25], v[22:23], v[20:21]
	v_fma_f64 v[14:15], -v[14:15], v[24:25], v[22:23]
	v_div_fmas_f64 v[14:15], v[14:15], v[20:21], v[24:25]
	v_div_fixup_f64 v[14:15], v[14:15], v[12:13], 1.0
	v_fma_f64 v[12:13], 0, v[2:3], v[0:1]
	v_fma_f64 v[20:21], v[0:1], 0, -v[2:3]
	v_mul_f64 v[12:13], v[12:13], v[14:15]
	v_mul_f64 v[14:15], v[20:21], v[14:15]
	ds_write_b128 v11, v[12:15]
.LBB22_18:                              ;   in Loop: Header=BB22_8 Depth=1
	s_xor_b64 s[34:35], exec, -1
.LBB22_19:                              ;   in Loop: Header=BB22_8 Depth=1
	s_or_b64 exec, exec, s[4:5]
	s_and_b64 s[34:35], s[34:35], exec
.LBB22_20:                              ;   in Loop: Header=BB22_8 Depth=1
	s_or_b64 exec, exec, s[36:37]
	s_mov_b32 s17, 4
	v_pk_mov_b32 v[12:13], v[6:7], v[6:7] op_sel:[0,1]
	v_pk_mov_b32 v[14:15], v[8:9], v[8:9] op_sel:[0,1]
	s_branch .LBB22_23
.LBB22_21:                              ;   in Loop: Header=BB22_8 Depth=1
	s_mov_b64 s[34:35], 0
                                        ; implicit-def: $sgpr17
                                        ; implicit-def: $vgpr12_vgpr13
                                        ; implicit-def: $vgpr14_vgpr15
	s_cbranch_execnz .LBB22_24
	s_branch .LBB22_26
.LBB22_22:                              ;   in Loop: Header=BB22_8 Depth=1
	s_mov_b64 s[34:35], -1
                                        ; implicit-def: $sgpr17
                                        ; implicit-def: $vgpr12_vgpr13
                                        ; implicit-def: $vgpr14_vgpr15
.LBB22_23:                              ;   in Loop: Header=BB22_8 Depth=1
	s_branch .LBB22_26
.LBB22_24:                              ;   in Loop: Header=BB22_8 Depth=1
	s_cmp_eq_u32 s13, 0
	s_cbranch_scc1 .LBB22_28
; %bb.25:                               ;   in Loop: Header=BB22_8 Depth=1
	s_mov_b64 s[34:35], -1
                                        ; implicit-def: $sgpr17
                                        ; implicit-def: $vgpr12_vgpr13
                                        ; implicit-def: $vgpr14_vgpr15
.LBB22_26:                              ;   in Loop: Header=BB22_8 Depth=1
	v_mov_b32_e32 v11, s17
	s_and_saveexec_b64 s[2:3], s[34:35]
	s_cbranch_execnz .LBB22_31
.LBB22_27:                              ;   in Loop: Header=BB22_8 Depth=1
	s_or_b64 exec, exec, s[2:3]
	s_and_saveexec_b64 s[2:3], s[30:31]
	s_cbranch_execnz .LBB22_35
	s_branch .LBB22_38
.LBB22_28:                              ;   in Loop: Header=BB22_8 Depth=1
	v_cmp_ge_i32_e32 vcc, s20, v10
	s_mov_b64 s[34:35], 0
	s_and_saveexec_b64 s[4:5], vcc
; %bb.29:                               ;   in Loop: Header=BB22_8 Depth=1
	s_mov_b64 s[30:31], exec
	s_and_b64 s[34:35], s[2:3], exec
; %bb.30:                               ;   in Loop: Header=BB22_8 Depth=1
	s_or_b64 exec, exec, s[4:5]
	s_mov_b32 s17, 2
	v_pk_mov_b32 v[12:13], v[6:7], v[6:7] op_sel:[0,1]
	v_pk_mov_b32 v[14:15], v[8:9], v[8:9] op_sel:[0,1]
	v_mov_b32_e32 v11, s17
	s_and_saveexec_b64 s[2:3], s[34:35]
	s_cbranch_execz .LBB22_27
.LBB22_31:                              ;   in Loop: Header=BB22_8 Depth=1
	v_ashrrev_i32_e32 v11, 31, v10
	v_lshlrev_b64 v[12:13], 2, v[10:11]
	v_mov_b32_e32 v14, s11
	v_add_co_u32_e32 v12, vcc, s10, v12
	v_addc_co_u32_e32 v13, vcc, v14, v13, vcc
	global_load_dword v14, v[12:13], off glc
	s_waitcnt vmcnt(0)
	v_cmp_eq_u32_e32 vcc, 0, v14
	s_and_saveexec_b64 s[4:5], vcc
	s_cbranch_execz .LBB22_34
; %bb.32:                               ;   in Loop: Header=BB22_8 Depth=1
	s_mov_b64 s[34:35], 0
.LBB22_33:                              ;   Parent Loop BB22_8 Depth=1
                                        ; =>  This Inner Loop Header: Depth=2
	global_load_dword v14, v[12:13], off glc
	s_waitcnt vmcnt(0)
	v_cmp_ne_u32_e32 vcc, 0, v14
	s_or_b64 s[34:35], vcc, s[34:35]
	s_andn2_b64 exec, exec, s[34:35]
	s_cbranch_execnz .LBB22_33
.LBB22_34:                              ;   in Loop: Header=BB22_8 Depth=1
	s_or_b64 exec, exec, s[4:5]
	v_lshlrev_b64 v[10:11], 4, v[10:11]
	v_mov_b32_e32 v12, s9
	v_add_co_u32_e32 v10, vcc, s8, v10
	v_addc_co_u32_e32 v11, vcc, v12, v11, vcc
	s_waitcnt lgkmcnt(0)
	buffer_wbinvl1_vol
	global_load_dwordx4 v[20:23], v[10:11], off
	v_mov_b32_e32 v11, 0
	s_andn2_b64 s[30:31], s[30:31], exec
	s_waitcnt vmcnt(0)
	v_fma_f64 v[14:15], -v[0:1], v[20:21], v[8:9]
	v_fma_f64 v[12:13], -v[2:3], v[20:21], v[6:7]
	v_fmac_f64_e32 v[14:15], v[2:3], v[22:23]
	v_fma_f64 v[12:13], -v[0:1], v[22:23], v[12:13]
	s_or_b64 exec, exec, s[2:3]
	s_and_saveexec_b64 s[2:3], s[30:31]
	s_cbranch_execz .LBB22_38
.LBB22_35:                              ;   in Loop: Header=BB22_8 Depth=1
	s_and_b64 vcc, exec, s[0:1]
	s_cbranch_vccnz .LBB22_37
; %bb.36:                               ;   in Loop: Header=BB22_8 Depth=1
	v_mul_f64 v[10:11], v[2:3], v[2:3]
	v_fmac_f64_e32 v[10:11], v[0:1], v[0:1]
	v_div_scale_f64 v[12:13], s[4:5], v[10:11], v[10:11], 1.0
	v_rcp_f64_e32 v[14:15], v[12:13]
	v_div_scale_f64 v[20:21], vcc, 1.0, v[10:11], 1.0
	v_fma_f64 v[22:23], -v[12:13], v[14:15], 1.0
	v_fmac_f64_e32 v[14:15], v[14:15], v[22:23]
	v_fma_f64 v[22:23], -v[12:13], v[14:15], 1.0
	v_fmac_f64_e32 v[14:15], v[14:15], v[22:23]
	v_mul_f64 v[22:23], v[20:21], v[14:15]
	v_fma_f64 v[12:13], -v[12:13], v[22:23], v[20:21]
	v_div_fmas_f64 v[12:13], v[12:13], v[14:15], v[22:23]
	v_div_fixup_f64 v[12:13], v[12:13], v[10:11], 1.0
	v_fma_f64 v[10:11], 0, v[2:3], v[0:1]
	v_fma_f64 v[0:1], v[0:1], 0, -v[2:3]
	v_mul_f64 v[10:11], v[10:11], v[12:13]
	v_mul_f64 v[12:13], v[0:1], v[12:13]
	v_mov_b32_e32 v0, s38
	ds_write_b128 v0, v[10:13]
.LBB22_37:                              ;   in Loop: Header=BB22_8 Depth=1
	v_mov_b32_e32 v11, 2
	v_pk_mov_b32 v[14:15], v[8:9], v[8:9] op_sel:[0,1]
	v_pk_mov_b32 v[12:13], v[6:7], v[6:7] op_sel:[0,1]
.LBB22_38:                              ;   in Loop: Header=BB22_8 Depth=1
	s_or_b64 exec, exec, s[2:3]
	v_cmp_gt_i32_e32 vcc, 4, v11
	s_mov_b64 s[2:3], -1
	s_mov_b64 s[4:5], -1
	s_and_saveexec_b64 s[30:31], vcc
; %bb.39:                               ;   in Loop: Header=BB22_8 Depth=1
	v_cmp_eq_u32_e32 vcc, 0, v11
	s_orn2_b64 s[4:5], vcc, exec
; %bb.40:                               ;   in Loop: Header=BB22_8 Depth=1
	s_or_b64 exec, exec, s[30:31]
	s_and_saveexec_b64 s[30:31], s[4:5]
	s_cbranch_execz .LBB22_7
; %bb.41:                               ;   in Loop: Header=BB22_8 Depth=1
	v_add_co_u32_e32 v4, vcc, 32, v4
	v_addc_co_u32_e32 v5, vcc, 0, v5, vcc
	v_cmp_le_i64_e32 vcc, s[22:23], v[4:5]
	s_orn2_b64 s[2:3], vcc, exec
	s_branch .LBB22_7
.LBB22_42:
	s_or_b64 exec, exec, s[28:29]
	v_pk_mov_b32 v[6:7], v[12:13], v[12:13] op_sel:[0,1]
	v_pk_mov_b32 v[8:9], v[14:15], v[14:15] op_sel:[0,1]
.LBB22_43:
	s_or_b64 exec, exec, s[24:25]
	s_nop 0
	v_mov_b32_dpp v0, v8 row_shr:1 row_mask:0xf bank_mask:0xf
	v_mov_b32_dpp v1, v9 row_shr:1 row_mask:0xf bank_mask:0xf
	v_add_f64 v[0:1], v[8:9], v[0:1]
	s_cmp_lg_u32 s14, 0
	s_nop 0
	v_mov_b32_dpp v2, v0 row_shr:2 row_mask:0xf bank_mask:0xf
	v_mov_b32_dpp v3, v1 row_shr:2 row_mask:0xf bank_mask:0xf
	v_add_f64 v[0:1], v[0:1], v[2:3]
	s_nop 1
	v_mov_b32_dpp v2, v0 row_shr:4 row_mask:0xf bank_mask:0xe
	v_mov_b32_dpp v3, v1 row_shr:4 row_mask:0xf bank_mask:0xe
	v_add_f64 v[0:1], v[0:1], v[2:3]
	;; [unrolled: 4-line block ×3, first 2 shown]
	s_nop 1
	v_mov_b32_dpp v2, v0 row_bcast:15 row_mask:0xa bank_mask:0xf
	v_mov_b32_dpp v3, v1 row_bcast:15 row_mask:0xa bank_mask:0xf
	v_add_f64 v[0:1], v[0:1], v[2:3]
	v_mov_b32_dpp v2, v6 row_shr:1 row_mask:0xf bank_mask:0xf
	v_mov_b32_dpp v3, v7 row_shr:1 row_mask:0xf bank_mask:0xf
	v_add_f64 v[2:3], v[6:7], v[2:3]
	s_nop 1
	v_mov_b32_dpp v4, v2 row_shr:2 row_mask:0xf bank_mask:0xf
	v_mov_b32_dpp v5, v3 row_shr:2 row_mask:0xf bank_mask:0xf
	v_add_f64 v[2:3], v[2:3], v[4:5]
	s_nop 1
	;; [unrolled: 4-line block ×4, first 2 shown]
	v_mov_b32_dpp v4, v2 row_bcast:15 row_mask:0xa bank_mask:0xf
	v_mov_b32_dpp v5, v3 row_bcast:15 row_mask:0xa bank_mask:0xf
	v_add_f64 v[2:3], v[2:3], v[4:5]
	s_cbranch_scc0 .LBB22_47
; %bb.44:
	v_cmp_eq_u32_e32 vcc, 31, v16
	s_and_saveexec_b64 s[0:1], vcc
	s_cbranch_execz .LBB22_46
.LBB22_45:
	s_lshl_b64 s[0:1], s[20:21], 4
	s_add_u32 s0, s8, s0
	s_addc_u32 s1, s9, s1
	s_lshl_b64 s[2:3], s[20:21], 2
	v_mov_b32_e32 v4, 0
	s_add_u32 s2, s10, s2
	s_addc_u32 s3, s11, s3
	global_store_dwordx4 v4, v[0:3], s[0:1] glc slc
	s_nop 0
	v_mov_b32_e32 v0, 1
	s_waitcnt vmcnt(0)
	global_store_dword v4, v0, s[2:3]
.LBB22_46:
	s_endpgm
.LBB22_47:
	s_lshl_b32 s0, s15, 4
	v_mov_b32_e32 v4, s0
	s_waitcnt lgkmcnt(0)
	ds_read_b128 v[4:7], v4
	s_waitcnt lgkmcnt(0)
	v_mul_f64 v[8:9], v[6:7], -v[2:3]
	v_mul_f64 v[6:7], v[0:1], v[6:7]
	v_fmac_f64_e32 v[8:9], v[0:1], v[4:5]
	v_fmac_f64_e32 v[6:7], v[2:3], v[4:5]
	v_pk_mov_b32 v[0:1], v[8:9], v[8:9] op_sel:[0,1]
	v_pk_mov_b32 v[2:3], v[6:7], v[6:7] op_sel:[0,1]
	v_cmp_eq_u32_e32 vcc, 31, v16
	s_and_saveexec_b64 s[0:1], vcc
	s_cbranch_execnz .LBB22_45
	s_branch .LBB22_46
	.section	.rodata,"a",@progbits
	.p2align	6, 0x0
	.amdhsa_kernel _ZN9rocsparseL12csrsv_kernelILj1024ELj32ELb0Eli21rocsparse_complex_numIdEEEvT3_NS_24const_host_device_scalarIT4_EEPKT2_PKS3_PKS5_SD_lPS5_PiSB_iPS3_21rocsparse_index_base_20rocsparse_fill_mode_20rocsparse_diag_type_b
		.amdhsa_group_segment_fixed_size 8704
		.amdhsa_private_segment_fixed_size 0
		.amdhsa_kernarg_size 120
		.amdhsa_user_sgpr_count 8
		.amdhsa_user_sgpr_private_segment_buffer 1
		.amdhsa_user_sgpr_dispatch_ptr 1
		.amdhsa_user_sgpr_queue_ptr 0
		.amdhsa_user_sgpr_kernarg_segment_ptr 1
		.amdhsa_user_sgpr_dispatch_id 0
		.amdhsa_user_sgpr_flat_scratch_init 0
		.amdhsa_user_sgpr_kernarg_preload_length 0
		.amdhsa_user_sgpr_kernarg_preload_offset 0
		.amdhsa_user_sgpr_private_segment_size 0
		.amdhsa_uses_dynamic_stack 0
		.amdhsa_system_sgpr_private_segment_wavefront_offset 0
		.amdhsa_system_sgpr_workgroup_id_x 1
		.amdhsa_system_sgpr_workgroup_id_y 0
		.amdhsa_system_sgpr_workgroup_id_z 0
		.amdhsa_system_sgpr_workgroup_info 0
		.amdhsa_system_vgpr_workitem_id 2
		.amdhsa_next_free_vgpr 26
		.amdhsa_next_free_sgpr 39
		.amdhsa_accum_offset 28
		.amdhsa_reserve_vcc 1
		.amdhsa_reserve_flat_scratch 0
		.amdhsa_float_round_mode_32 0
		.amdhsa_float_round_mode_16_64 0
		.amdhsa_float_denorm_mode_32 3
		.amdhsa_float_denorm_mode_16_64 3
		.amdhsa_dx10_clamp 1
		.amdhsa_ieee_mode 1
		.amdhsa_fp16_overflow 0
		.amdhsa_tg_split 0
		.amdhsa_exception_fp_ieee_invalid_op 0
		.amdhsa_exception_fp_denorm_src 0
		.amdhsa_exception_fp_ieee_div_zero 0
		.amdhsa_exception_fp_ieee_overflow 0
		.amdhsa_exception_fp_ieee_underflow 0
		.amdhsa_exception_fp_ieee_inexact 0
		.amdhsa_exception_int_div_zero 0
	.end_amdhsa_kernel
	.section	.text._ZN9rocsparseL12csrsv_kernelILj1024ELj32ELb0Eli21rocsparse_complex_numIdEEEvT3_NS_24const_host_device_scalarIT4_EEPKT2_PKS3_PKS5_SD_lPS5_PiSB_iPS3_21rocsparse_index_base_20rocsparse_fill_mode_20rocsparse_diag_type_b,"axG",@progbits,_ZN9rocsparseL12csrsv_kernelILj1024ELj32ELb0Eli21rocsparse_complex_numIdEEEvT3_NS_24const_host_device_scalarIT4_EEPKT2_PKS3_PKS5_SD_lPS5_PiSB_iPS3_21rocsparse_index_base_20rocsparse_fill_mode_20rocsparse_diag_type_b,comdat
.Lfunc_end22:
	.size	_ZN9rocsparseL12csrsv_kernelILj1024ELj32ELb0Eli21rocsparse_complex_numIdEEEvT3_NS_24const_host_device_scalarIT4_EEPKT2_PKS3_PKS5_SD_lPS5_PiSB_iPS3_21rocsparse_index_base_20rocsparse_fill_mode_20rocsparse_diag_type_b, .Lfunc_end22-_ZN9rocsparseL12csrsv_kernelILj1024ELj32ELb0Eli21rocsparse_complex_numIdEEEvT3_NS_24const_host_device_scalarIT4_EEPKT2_PKS3_PKS5_SD_lPS5_PiSB_iPS3_21rocsparse_index_base_20rocsparse_fill_mode_20rocsparse_diag_type_b
                                        ; -- End function
	.section	.AMDGPU.csdata,"",@progbits
; Kernel info:
; codeLenInByte = 1968
; NumSgprs: 43
; NumVgprs: 26
; NumAgprs: 0
; TotalNumVgprs: 26
; ScratchSize: 0
; MemoryBound: 0
; FloatMode: 240
; IeeeMode: 1
; LDSByteSize: 8704 bytes/workgroup (compile time only)
; SGPRBlocks: 5
; VGPRBlocks: 3
; NumSGPRsForWavesPerEU: 43
; NumVGPRsForWavesPerEU: 26
; AccumOffset: 28
; Occupancy: 8
; WaveLimiterHint : 1
; COMPUTE_PGM_RSRC2:SCRATCH_EN: 0
; COMPUTE_PGM_RSRC2:USER_SGPR: 8
; COMPUTE_PGM_RSRC2:TRAP_HANDLER: 0
; COMPUTE_PGM_RSRC2:TGID_X_EN: 1
; COMPUTE_PGM_RSRC2:TGID_Y_EN: 0
; COMPUTE_PGM_RSRC2:TGID_Z_EN: 0
; COMPUTE_PGM_RSRC2:TIDIG_COMP_CNT: 2
; COMPUTE_PGM_RSRC3_GFX90A:ACCUM_OFFSET: 6
; COMPUTE_PGM_RSRC3_GFX90A:TG_SPLIT: 0
	.section	.text._ZN9rocsparseL12csrsv_kernelILj1024ELj64ELb0Eli21rocsparse_complex_numIdEEEvT3_NS_24const_host_device_scalarIT4_EEPKT2_PKS3_PKS5_SD_lPS5_PiSB_iPS3_21rocsparse_index_base_20rocsparse_fill_mode_20rocsparse_diag_type_b,"axG",@progbits,_ZN9rocsparseL12csrsv_kernelILj1024ELj64ELb0Eli21rocsparse_complex_numIdEEEvT3_NS_24const_host_device_scalarIT4_EEPKT2_PKS3_PKS5_SD_lPS5_PiSB_iPS3_21rocsparse_index_base_20rocsparse_fill_mode_20rocsparse_diag_type_b,comdat
	.globl	_ZN9rocsparseL12csrsv_kernelILj1024ELj64ELb0Eli21rocsparse_complex_numIdEEEvT3_NS_24const_host_device_scalarIT4_EEPKT2_PKS3_PKS5_SD_lPS5_PiSB_iPS3_21rocsparse_index_base_20rocsparse_fill_mode_20rocsparse_diag_type_b ; -- Begin function _ZN9rocsparseL12csrsv_kernelILj1024ELj64ELb0Eli21rocsparse_complex_numIdEEEvT3_NS_24const_host_device_scalarIT4_EEPKT2_PKS3_PKS5_SD_lPS5_PiSB_iPS3_21rocsparse_index_base_20rocsparse_fill_mode_20rocsparse_diag_type_b
	.p2align	8
	.type	_ZN9rocsparseL12csrsv_kernelILj1024ELj64ELb0Eli21rocsparse_complex_numIdEEEvT3_NS_24const_host_device_scalarIT4_EEPKT2_PKS3_PKS5_SD_lPS5_PiSB_iPS3_21rocsparse_index_base_20rocsparse_fill_mode_20rocsparse_diag_type_b,@function
_ZN9rocsparseL12csrsv_kernelILj1024ELj64ELb0Eli21rocsparse_complex_numIdEEEvT3_NS_24const_host_device_scalarIT4_EEPKT2_PKS3_PKS5_SD_lPS5_PiSB_iPS3_21rocsparse_index_base_20rocsparse_fill_mode_20rocsparse_diag_type_b: ; @_ZN9rocsparseL12csrsv_kernelILj1024ELj64ELb0Eli21rocsparse_complex_numIdEEEvT3_NS_24const_host_device_scalarIT4_EEPKT2_PKS3_PKS5_SD_lPS5_PiSB_iPS3_21rocsparse_index_base_20rocsparse_fill_mode_20rocsparse_diag_type_b
; %bb.0:
	s_load_dwordx4 s[12:15], s[6:7], 0x68
	s_load_dwordx2 s[10:11], s[4:5], 0x4
	s_load_dwordx4 s[0:3], s[6:7], 0x8
	v_and_b32_e32 v4, 0x3ff, v0
	v_bfe_u32 v2, v0, 10, 10
	s_waitcnt lgkmcnt(0)
	s_and_b32 s4, 1, s15
	s_lshr_b32 s5, s10, 16
	s_mul_i32 s5, s5, s11
	v_mul_lo_u32 v1, s5, v4
	v_mad_u32_u24 v1, v2, s11, v1
	v_bfe_u32 v0, v0, 20, 10
	s_cmp_eq_u32 s4, 1
	v_add_lshl_u32 v2, v1, v0, 3
	v_add_u32_e32 v3, 0x100, v2
	v_pk_mov_b32 v[0:1], s[0:1], s[0:1] op_sel:[0,1]
	s_cselect_b64 vcc, -1, 0
	ds_write_b64 v2, v[0:1] offset:256
	s_mov_b64 s[4:5], src_shared_base
	v_cndmask_b32_e32 v0, v0, v3, vcc
	s_and_b64 vcc, vcc, exec
	s_cselect_b32 s4, s5, s1
	v_mov_b32_e32 v1, s4
	flat_load_dwordx2 v[0:1], v[0:1]
	v_pk_mov_b32 v[2:3], s[2:3], s[2:3] op_sel:[0,1]
	s_cbranch_vccnz .LBB23_2
; %bb.1:
	v_pk_mov_b32 v[2:3], s[0:1], s[0:1] op_sel:[0,1]
	flat_load_dwordx2 v[2:3], v[2:3] offset:8
.LBB23_2:
	s_load_dword s1, s[6:7], 0x0
	v_lshrrev_b32_e32 v5, 6, v4
	v_readfirstlane_b32 s15, v5
	s_lshl_b32 s0, s8, 4
	s_add_i32 s0, s15, s0
	s_waitcnt lgkmcnt(0)
	s_cmp_ge_i32 s0, s1
	s_cbranch_scc1 .LBB23_46
; %bb.3:
	s_load_dword s1, s[6:7], 0x58
	s_load_dwordx2 s[2:3], s[6:7], 0x50
	v_and_b32_e32 v16, 63, v4
	v_pk_mov_b32 v[8:9], 0, 0
	v_cmp_eq_u32_e32 vcc, 0, v16
	s_waitcnt lgkmcnt(0)
	s_add_i32 s0, s0, s1
	s_ashr_i32 s1, s0, 31
	s_lshl_b64 s[0:1], s[0:1], 2
	s_add_u32 s0, s2, s0
	s_addc_u32 s1, s3, s1
	s_load_dword s20, s[0:1], 0x0
	s_load_dwordx2 s[2:3], s[6:7], 0x18
	s_load_dwordx4 s[8:11], s[6:7], 0x40
	v_pk_mov_b32 v[4:5], v[8:9], v[8:9] op_sel:[0,1]
	s_waitcnt lgkmcnt(0)
	s_ashr_i32 s21, s20, 31
	s_lshl_b64 s[0:1], s[20:21], 3
	s_add_u32 s0, s2, s0
	s_addc_u32 s1, s3, s1
	s_load_dwordx4 s[0:3], s[0:1], 0x0
	s_and_saveexec_b64 s[4:5], vcc
	s_cbranch_execz .LBB23_5
; %bb.4:
	s_load_dwordx4 s[16:19], s[6:7], 0x30
	s_waitcnt lgkmcnt(0)
	s_mul_i32 s19, s20, s19
	s_mul_hi_u32 s22, s20, s18
	s_mul_i32 s23, s21, s18
	s_add_i32 s19, s22, s19
	s_mul_i32 s18, s20, s18
	s_add_i32 s19, s19, s23
	s_lshl_b64 s[18:19], s[18:19], 4
	s_add_u32 s16, s16, s18
	s_addc_u32 s17, s17, s19
	s_load_dwordx4 s[16:19], s[16:17], 0x0
	s_waitcnt vmcnt(0) lgkmcnt(0)
	v_mul_f64 v[8:9], s[18:19], -v[2:3]
	v_mul_f64 v[4:5], v[0:1], s[18:19]
	v_fmac_f64_e32 v[8:9], s[16:17], v[0:1]
	v_fmac_f64_e32 v[4:5], s[16:17], v[2:3]
.LBB23_5:
	s_or_b64 exec, exec, s[4:5]
	s_waitcnt lgkmcnt(0)
	s_sub_u32 s22, s2, s12
	s_waitcnt vmcnt(0)
	v_subrev_co_u32_e32 v0, vcc, s12, v16
	s_subb_u32 s23, s3, 0
	v_subb_co_u32_e64 v1, s[2:3], 0, 0, vcc
	v_mov_b32_e32 v2, s1
	v_add_co_u32_e32 v6, vcc, s0, v0
	v_addc_co_u32_e32 v7, vcc, v2, v1, vcc
	v_cmp_gt_i64_e32 vcc, s[22:23], v[6:7]
	s_and_saveexec_b64 s[24:25], vcc
	s_cbranch_execz .LBB23_43
; %bb.6:
	s_load_dwordx2 s[26:27], s[6:7], 0x60
	s_load_dwordx4 s[16:19], s[6:7], 0x20
	s_cmp_eq_u32 s14, 0
	s_cselect_b64 s[6:7], -1, 0
	v_cndmask_b32_e64 v0, 0, 1, s[6:7]
	s_add_i32 s33, s20, s12
	s_lshl_b32 s38, s15, 4
	s_mov_b64 s[28:29], 0
	s_waitcnt lgkmcnt(0)
	v_mov_b32_e32 v17, s17
	v_mov_b32_e32 v18, s19
	;; [unrolled: 1-line block ×3, first 2 shown]
	v_cmp_ne_u32_e64 s[0:1], 1, v0
	s_branch .LBB23_8
.LBB23_7:                               ;   in Loop: Header=BB23_8 Depth=1
	s_or_b64 exec, exec, s[30:31]
	s_and_b64 s[2:3], exec, s[2:3]
	s_or_b64 s[28:29], s[2:3], s[28:29]
	v_pk_mov_b32 v[4:5], v[12:13], v[12:13] op_sel:[0,1]
	v_pk_mov_b32 v[8:9], v[14:15], v[14:15] op_sel:[0,1]
	s_andn2_b64 exec, exec, s[28:29]
	s_cbranch_execz .LBB23_42
.LBB23_8:                               ; =>This Loop Header: Depth=1
                                        ;     Child Loop BB23_33 Depth 2
	v_lshlrev_b64 v[0:1], 2, v[6:7]
	v_add_co_u32_e32 v0, vcc, s16, v0
	v_addc_co_u32_e32 v1, vcc, v17, v1, vcc
	global_load_dword v10, v[0:1], off glc slc
	v_lshlrev_b64 v[0:1], 4, v[6:7]
	v_add_co_u32_e32 v0, vcc, s18, v0
	v_addc_co_u32_e32 v1, vcc, v18, v1, vcc
	global_load_dwordx4 v[0:3], v[0:1], off glc slc
	s_waitcnt vmcnt(1)
	v_subrev_u32_e32 v10, s12, v10
	s_waitcnt vmcnt(0)
	v_cmp_eq_f64_e32 vcc, 0, v[0:1]
	v_cmp_eq_f64_e64 s[2:3], 0, v[2:3]
	s_and_b64 s[2:3], vcc, s[2:3]
	v_cmp_eq_u32_e32 vcc, s20, v10
	s_and_b64 s[2:3], s[2:3], vcc
	s_and_b64 s[2:3], s[6:7], s[2:3]
	s_and_saveexec_b64 s[4:5], s[2:3]
	s_cbranch_execz .LBB23_12
; %bb.9:                                ;   in Loop: Header=BB23_8 Depth=1
	v_mbcnt_lo_u32_b32 v0, exec_lo, 0
	v_mbcnt_hi_u32_b32 v0, exec_hi, v0
	v_cmp_eq_u32_e64 s[2:3], 0, v0
	s_and_saveexec_b64 s[30:31], s[2:3]
	s_cbranch_execz .LBB23_11
; %bb.10:                               ;   in Loop: Header=BB23_8 Depth=1
	v_mov_b32_e32 v0, s33
	global_atomic_smin v19, v0, s[26:27]
.LBB23_11:                              ;   in Loop: Header=BB23_8 Depth=1
	s_or_b64 exec, exec, s[30:31]
	v_mov_b32_e32 v0, 0
	v_mov_b32_e32 v1, 0x3ff00000
	v_pk_mov_b32 v[2:3], 0, 0
.LBB23_12:                              ;   in Loop: Header=BB23_8 Depth=1
	s_or_b64 exec, exec, s[4:5]
	v_cmp_ne_u32_e64 s[2:3], s20, v10
	s_cmp_lt_i32 s13, 1
	s_mov_b64 s[30:31], 0
	s_cbranch_scc1 .LBB23_21
; %bb.13:                               ;   in Loop: Header=BB23_8 Depth=1
	s_cmp_eq_u32 s13, 1
	s_cbranch_scc0 .LBB23_22
; %bb.14:                               ;   in Loop: Header=BB23_8 Depth=1
	v_cmp_le_i32_e64 s[4:5], s20, v10
	s_mov_b64 s[34:35], 0
	s_and_saveexec_b64 s[36:37], s[4:5]
	s_cbranch_execz .LBB23_20
; %bb.15:                               ;   in Loop: Header=BB23_8 Depth=1
	s_mov_b64 s[34:35], -1
	s_and_saveexec_b64 s[4:5], vcc
	s_xor_b64 s[4:5], exec, s[4:5]
	s_cbranch_execz .LBB23_19
; %bb.16:                               ;   in Loop: Header=BB23_8 Depth=1
	s_and_b64 vcc, exec, s[0:1]
	s_cbranch_vccnz .LBB23_18
; %bb.17:                               ;   in Loop: Header=BB23_8 Depth=1
	v_mul_f64 v[12:13], v[2:3], v[2:3]
	v_fmac_f64_e32 v[12:13], v[0:1], v[0:1]
	v_div_scale_f64 v[14:15], s[34:35], v[12:13], v[12:13], 1.0
	v_rcp_f64_e32 v[20:21], v[14:15]
	v_div_scale_f64 v[22:23], vcc, 1.0, v[12:13], 1.0
	v_mov_b32_e32 v11, s38
	v_fma_f64 v[24:25], -v[14:15], v[20:21], 1.0
	v_fmac_f64_e32 v[20:21], v[20:21], v[24:25]
	v_fma_f64 v[24:25], -v[14:15], v[20:21], 1.0
	v_fmac_f64_e32 v[20:21], v[20:21], v[24:25]
	v_mul_f64 v[24:25], v[22:23], v[20:21]
	v_fma_f64 v[14:15], -v[14:15], v[24:25], v[22:23]
	v_div_fmas_f64 v[14:15], v[14:15], v[20:21], v[24:25]
	v_div_fixup_f64 v[14:15], v[14:15], v[12:13], 1.0
	v_fma_f64 v[12:13], 0, v[2:3], v[0:1]
	v_fma_f64 v[20:21], v[0:1], 0, -v[2:3]
	v_mul_f64 v[12:13], v[12:13], v[14:15]
	v_mul_f64 v[14:15], v[20:21], v[14:15]
	ds_write_b128 v11, v[12:15]
.LBB23_18:                              ;   in Loop: Header=BB23_8 Depth=1
	s_xor_b64 s[34:35], exec, -1
.LBB23_19:                              ;   in Loop: Header=BB23_8 Depth=1
	s_or_b64 exec, exec, s[4:5]
	s_and_b64 s[34:35], s[34:35], exec
.LBB23_20:                              ;   in Loop: Header=BB23_8 Depth=1
	s_or_b64 exec, exec, s[36:37]
	s_mov_b32 s17, 4
	v_pk_mov_b32 v[12:13], v[4:5], v[4:5] op_sel:[0,1]
	v_pk_mov_b32 v[14:15], v[8:9], v[8:9] op_sel:[0,1]
	s_branch .LBB23_23
.LBB23_21:                              ;   in Loop: Header=BB23_8 Depth=1
	s_mov_b64 s[34:35], 0
                                        ; implicit-def: $sgpr17
                                        ; implicit-def: $vgpr12_vgpr13
                                        ; implicit-def: $vgpr14_vgpr15
	s_cbranch_execnz .LBB23_24
	s_branch .LBB23_26
.LBB23_22:                              ;   in Loop: Header=BB23_8 Depth=1
	s_mov_b64 s[34:35], -1
                                        ; implicit-def: $sgpr17
                                        ; implicit-def: $vgpr12_vgpr13
                                        ; implicit-def: $vgpr14_vgpr15
.LBB23_23:                              ;   in Loop: Header=BB23_8 Depth=1
	s_branch .LBB23_26
.LBB23_24:                              ;   in Loop: Header=BB23_8 Depth=1
	s_cmp_eq_u32 s13, 0
	s_cbranch_scc1 .LBB23_28
; %bb.25:                               ;   in Loop: Header=BB23_8 Depth=1
	s_mov_b64 s[34:35], -1
                                        ; implicit-def: $sgpr17
                                        ; implicit-def: $vgpr12_vgpr13
                                        ; implicit-def: $vgpr14_vgpr15
.LBB23_26:                              ;   in Loop: Header=BB23_8 Depth=1
	v_mov_b32_e32 v11, s17
	s_and_saveexec_b64 s[2:3], s[34:35]
	s_cbranch_execnz .LBB23_31
.LBB23_27:                              ;   in Loop: Header=BB23_8 Depth=1
	s_or_b64 exec, exec, s[2:3]
	s_and_saveexec_b64 s[2:3], s[30:31]
	s_cbranch_execnz .LBB23_35
	s_branch .LBB23_38
.LBB23_28:                              ;   in Loop: Header=BB23_8 Depth=1
	v_cmp_ge_i32_e32 vcc, s20, v10
	s_mov_b64 s[34:35], 0
	s_and_saveexec_b64 s[4:5], vcc
; %bb.29:                               ;   in Loop: Header=BB23_8 Depth=1
	s_mov_b64 s[30:31], exec
	s_and_b64 s[34:35], s[2:3], exec
; %bb.30:                               ;   in Loop: Header=BB23_8 Depth=1
	s_or_b64 exec, exec, s[4:5]
	s_mov_b32 s17, 2
	v_pk_mov_b32 v[12:13], v[4:5], v[4:5] op_sel:[0,1]
	v_pk_mov_b32 v[14:15], v[8:9], v[8:9] op_sel:[0,1]
	v_mov_b32_e32 v11, s17
	s_and_saveexec_b64 s[2:3], s[34:35]
	s_cbranch_execz .LBB23_27
.LBB23_31:                              ;   in Loop: Header=BB23_8 Depth=1
	v_ashrrev_i32_e32 v11, 31, v10
	v_lshlrev_b64 v[12:13], 2, v[10:11]
	v_mov_b32_e32 v14, s11
	v_add_co_u32_e32 v12, vcc, s10, v12
	v_addc_co_u32_e32 v13, vcc, v14, v13, vcc
	global_load_dword v14, v[12:13], off glc
	s_waitcnt vmcnt(0)
	v_cmp_eq_u32_e32 vcc, 0, v14
	s_and_saveexec_b64 s[4:5], vcc
	s_cbranch_execz .LBB23_34
; %bb.32:                               ;   in Loop: Header=BB23_8 Depth=1
	s_mov_b64 s[34:35], 0
.LBB23_33:                              ;   Parent Loop BB23_8 Depth=1
                                        ; =>  This Inner Loop Header: Depth=2
	global_load_dword v14, v[12:13], off glc
	s_waitcnt vmcnt(0)
	v_cmp_ne_u32_e32 vcc, 0, v14
	s_or_b64 s[34:35], vcc, s[34:35]
	s_andn2_b64 exec, exec, s[34:35]
	s_cbranch_execnz .LBB23_33
.LBB23_34:                              ;   in Loop: Header=BB23_8 Depth=1
	s_or_b64 exec, exec, s[4:5]
	v_lshlrev_b64 v[10:11], 4, v[10:11]
	v_mov_b32_e32 v12, s9
	v_add_co_u32_e32 v10, vcc, s8, v10
	v_addc_co_u32_e32 v11, vcc, v12, v11, vcc
	s_waitcnt lgkmcnt(0)
	buffer_wbinvl1_vol
	global_load_dwordx4 v[20:23], v[10:11], off
	v_mov_b32_e32 v11, 0
	s_andn2_b64 s[30:31], s[30:31], exec
	s_waitcnt vmcnt(0)
	v_fma_f64 v[14:15], -v[0:1], v[20:21], v[8:9]
	v_fma_f64 v[12:13], -v[2:3], v[20:21], v[4:5]
	v_fmac_f64_e32 v[14:15], v[2:3], v[22:23]
	v_fma_f64 v[12:13], -v[0:1], v[22:23], v[12:13]
	s_or_b64 exec, exec, s[2:3]
	s_and_saveexec_b64 s[2:3], s[30:31]
	s_cbranch_execz .LBB23_38
.LBB23_35:                              ;   in Loop: Header=BB23_8 Depth=1
	s_and_b64 vcc, exec, s[0:1]
	s_cbranch_vccnz .LBB23_37
; %bb.36:                               ;   in Loop: Header=BB23_8 Depth=1
	v_mul_f64 v[10:11], v[2:3], v[2:3]
	v_fmac_f64_e32 v[10:11], v[0:1], v[0:1]
	v_div_scale_f64 v[12:13], s[4:5], v[10:11], v[10:11], 1.0
	v_rcp_f64_e32 v[14:15], v[12:13]
	v_div_scale_f64 v[20:21], vcc, 1.0, v[10:11], 1.0
	v_fma_f64 v[22:23], -v[12:13], v[14:15], 1.0
	v_fmac_f64_e32 v[14:15], v[14:15], v[22:23]
	v_fma_f64 v[22:23], -v[12:13], v[14:15], 1.0
	v_fmac_f64_e32 v[14:15], v[14:15], v[22:23]
	v_mul_f64 v[22:23], v[20:21], v[14:15]
	v_fma_f64 v[12:13], -v[12:13], v[22:23], v[20:21]
	v_div_fmas_f64 v[12:13], v[12:13], v[14:15], v[22:23]
	v_div_fixup_f64 v[12:13], v[12:13], v[10:11], 1.0
	v_fma_f64 v[10:11], 0, v[2:3], v[0:1]
	v_fma_f64 v[0:1], v[0:1], 0, -v[2:3]
	v_mul_f64 v[10:11], v[10:11], v[12:13]
	v_mul_f64 v[12:13], v[0:1], v[12:13]
	v_mov_b32_e32 v0, s38
	ds_write_b128 v0, v[10:13]
.LBB23_37:                              ;   in Loop: Header=BB23_8 Depth=1
	v_mov_b32_e32 v11, 2
	v_pk_mov_b32 v[14:15], v[8:9], v[8:9] op_sel:[0,1]
	v_pk_mov_b32 v[12:13], v[4:5], v[4:5] op_sel:[0,1]
.LBB23_38:                              ;   in Loop: Header=BB23_8 Depth=1
	s_or_b64 exec, exec, s[2:3]
	v_cmp_gt_i32_e32 vcc, 4, v11
	s_mov_b64 s[2:3], -1
	s_mov_b64 s[4:5], -1
	s_and_saveexec_b64 s[30:31], vcc
; %bb.39:                               ;   in Loop: Header=BB23_8 Depth=1
	v_cmp_eq_u32_e32 vcc, 0, v11
	s_orn2_b64 s[4:5], vcc, exec
; %bb.40:                               ;   in Loop: Header=BB23_8 Depth=1
	s_or_b64 exec, exec, s[30:31]
	s_and_saveexec_b64 s[30:31], s[4:5]
	s_cbranch_execz .LBB23_7
; %bb.41:                               ;   in Loop: Header=BB23_8 Depth=1
	v_add_co_u32_e32 v6, vcc, 64, v6
	v_addc_co_u32_e32 v7, vcc, 0, v7, vcc
	v_cmp_le_i64_e32 vcc, s[22:23], v[6:7]
	s_orn2_b64 s[2:3], vcc, exec
	s_branch .LBB23_7
.LBB23_42:
	s_or_b64 exec, exec, s[28:29]
	v_pk_mov_b32 v[4:5], v[12:13], v[12:13] op_sel:[0,1]
	v_pk_mov_b32 v[8:9], v[14:15], v[14:15] op_sel:[0,1]
.LBB23_43:
	s_or_b64 exec, exec, s[24:25]
	s_nop 0
	v_mov_b32_dpp v0, v8 row_shr:1 row_mask:0xf bank_mask:0xf
	v_mov_b32_dpp v1, v9 row_shr:1 row_mask:0xf bank_mask:0xf
	v_add_f64 v[0:1], v[8:9], v[0:1]
	s_cmp_lg_u32 s14, 0
	s_nop 0
	v_mov_b32_dpp v2, v0 row_shr:2 row_mask:0xf bank_mask:0xf
	v_mov_b32_dpp v3, v1 row_shr:2 row_mask:0xf bank_mask:0xf
	v_add_f64 v[0:1], v[0:1], v[2:3]
	s_nop 1
	v_mov_b32_dpp v2, v0 row_shr:4 row_mask:0xf bank_mask:0xe
	v_mov_b32_dpp v3, v1 row_shr:4 row_mask:0xf bank_mask:0xe
	v_add_f64 v[0:1], v[0:1], v[2:3]
	;; [unrolled: 4-line block ×3, first 2 shown]
	s_nop 1
	v_mov_b32_dpp v2, v0 row_bcast:15 row_mask:0xa bank_mask:0xf
	v_mov_b32_dpp v3, v1 row_bcast:15 row_mask:0xa bank_mask:0xf
	v_add_f64 v[0:1], v[0:1], v[2:3]
	s_nop 1
	v_mov_b32_dpp v2, v0 row_bcast:31 row_mask:0xc bank_mask:0xf
	v_mov_b32_dpp v3, v1 row_bcast:31 row_mask:0xc bank_mask:0xf
	v_add_f64 v[0:1], v[0:1], v[2:3]
	v_mov_b32_dpp v2, v4 row_shr:1 row_mask:0xf bank_mask:0xf
	v_mov_b32_dpp v3, v5 row_shr:1 row_mask:0xf bank_mask:0xf
	v_add_f64 v[2:3], v[4:5], v[2:3]
	s_nop 1
	v_mov_b32_dpp v4, v2 row_shr:2 row_mask:0xf bank_mask:0xf
	v_mov_b32_dpp v5, v3 row_shr:2 row_mask:0xf bank_mask:0xf
	v_add_f64 v[2:3], v[2:3], v[4:5]
	s_nop 1
	;; [unrolled: 4-line block ×4, first 2 shown]
	v_mov_b32_dpp v4, v2 row_bcast:15 row_mask:0xa bank_mask:0xf
	v_mov_b32_dpp v5, v3 row_bcast:15 row_mask:0xa bank_mask:0xf
	v_add_f64 v[2:3], v[2:3], v[4:5]
	s_nop 1
	v_mov_b32_dpp v4, v2 row_bcast:31 row_mask:0xc bank_mask:0xf
	v_mov_b32_dpp v5, v3 row_bcast:31 row_mask:0xc bank_mask:0xf
	v_add_f64 v[2:3], v[2:3], v[4:5]
	s_cbranch_scc0 .LBB23_47
; %bb.44:
	v_cmp_eq_u32_e32 vcc, 63, v16
	s_and_saveexec_b64 s[0:1], vcc
	s_cbranch_execz .LBB23_46
.LBB23_45:
	s_lshl_b64 s[0:1], s[20:21], 4
	s_add_u32 s0, s8, s0
	s_addc_u32 s1, s9, s1
	s_lshl_b64 s[2:3], s[20:21], 2
	v_mov_b32_e32 v4, 0
	s_add_u32 s2, s10, s2
	s_addc_u32 s3, s11, s3
	global_store_dwordx4 v4, v[0:3], s[0:1] glc slc
	s_nop 0
	v_mov_b32_e32 v0, 1
	s_waitcnt vmcnt(0)
	global_store_dword v4, v0, s[2:3]
.LBB23_46:
	s_endpgm
.LBB23_47:
	s_lshl_b32 s0, s15, 4
	v_mov_b32_e32 v4, s0
	s_waitcnt lgkmcnt(0)
	ds_read_b128 v[4:7], v4
	s_waitcnt lgkmcnt(0)
	v_mul_f64 v[8:9], v[6:7], -v[2:3]
	v_mul_f64 v[6:7], v[0:1], v[6:7]
	v_fmac_f64_e32 v[8:9], v[0:1], v[4:5]
	v_fmac_f64_e32 v[6:7], v[2:3], v[4:5]
	v_pk_mov_b32 v[0:1], v[8:9], v[8:9] op_sel:[0,1]
	v_pk_mov_b32 v[2:3], v[6:7], v[6:7] op_sel:[0,1]
	v_cmp_eq_u32_e32 vcc, 63, v16
	s_and_saveexec_b64 s[0:1], vcc
	s_cbranch_execnz .LBB23_45
	s_branch .LBB23_46
	.section	.rodata,"a",@progbits
	.p2align	6, 0x0
	.amdhsa_kernel _ZN9rocsparseL12csrsv_kernelILj1024ELj64ELb0Eli21rocsparse_complex_numIdEEEvT3_NS_24const_host_device_scalarIT4_EEPKT2_PKS3_PKS5_SD_lPS5_PiSB_iPS3_21rocsparse_index_base_20rocsparse_fill_mode_20rocsparse_diag_type_b
		.amdhsa_group_segment_fixed_size 8448
		.amdhsa_private_segment_fixed_size 0
		.amdhsa_kernarg_size 120
		.amdhsa_user_sgpr_count 8
		.amdhsa_user_sgpr_private_segment_buffer 1
		.amdhsa_user_sgpr_dispatch_ptr 1
		.amdhsa_user_sgpr_queue_ptr 0
		.amdhsa_user_sgpr_kernarg_segment_ptr 1
		.amdhsa_user_sgpr_dispatch_id 0
		.amdhsa_user_sgpr_flat_scratch_init 0
		.amdhsa_user_sgpr_kernarg_preload_length 0
		.amdhsa_user_sgpr_kernarg_preload_offset 0
		.amdhsa_user_sgpr_private_segment_size 0
		.amdhsa_uses_dynamic_stack 0
		.amdhsa_system_sgpr_private_segment_wavefront_offset 0
		.amdhsa_system_sgpr_workgroup_id_x 1
		.amdhsa_system_sgpr_workgroup_id_y 0
		.amdhsa_system_sgpr_workgroup_id_z 0
		.amdhsa_system_sgpr_workgroup_info 0
		.amdhsa_system_vgpr_workitem_id 2
		.amdhsa_next_free_vgpr 26
		.amdhsa_next_free_sgpr 39
		.amdhsa_accum_offset 28
		.amdhsa_reserve_vcc 1
		.amdhsa_reserve_flat_scratch 0
		.amdhsa_float_round_mode_32 0
		.amdhsa_float_round_mode_16_64 0
		.amdhsa_float_denorm_mode_32 3
		.amdhsa_float_denorm_mode_16_64 3
		.amdhsa_dx10_clamp 1
		.amdhsa_ieee_mode 1
		.amdhsa_fp16_overflow 0
		.amdhsa_tg_split 0
		.amdhsa_exception_fp_ieee_invalid_op 0
		.amdhsa_exception_fp_denorm_src 0
		.amdhsa_exception_fp_ieee_div_zero 0
		.amdhsa_exception_fp_ieee_overflow 0
		.amdhsa_exception_fp_ieee_underflow 0
		.amdhsa_exception_fp_ieee_inexact 0
		.amdhsa_exception_int_div_zero 0
	.end_amdhsa_kernel
	.section	.text._ZN9rocsparseL12csrsv_kernelILj1024ELj64ELb0Eli21rocsparse_complex_numIdEEEvT3_NS_24const_host_device_scalarIT4_EEPKT2_PKS3_PKS5_SD_lPS5_PiSB_iPS3_21rocsparse_index_base_20rocsparse_fill_mode_20rocsparse_diag_type_b,"axG",@progbits,_ZN9rocsparseL12csrsv_kernelILj1024ELj64ELb0Eli21rocsparse_complex_numIdEEEvT3_NS_24const_host_device_scalarIT4_EEPKT2_PKS3_PKS5_SD_lPS5_PiSB_iPS3_21rocsparse_index_base_20rocsparse_fill_mode_20rocsparse_diag_type_b,comdat
.Lfunc_end23:
	.size	_ZN9rocsparseL12csrsv_kernelILj1024ELj64ELb0Eli21rocsparse_complex_numIdEEEvT3_NS_24const_host_device_scalarIT4_EEPKT2_PKS3_PKS5_SD_lPS5_PiSB_iPS3_21rocsparse_index_base_20rocsparse_fill_mode_20rocsparse_diag_type_b, .Lfunc_end23-_ZN9rocsparseL12csrsv_kernelILj1024ELj64ELb0Eli21rocsparse_complex_numIdEEEvT3_NS_24const_host_device_scalarIT4_EEPKT2_PKS3_PKS5_SD_lPS5_PiSB_iPS3_21rocsparse_index_base_20rocsparse_fill_mode_20rocsparse_diag_type_b
                                        ; -- End function
	.section	.AMDGPU.csdata,"",@progbits
; Kernel info:
; codeLenInByte = 2024
; NumSgprs: 43
; NumVgprs: 26
; NumAgprs: 0
; TotalNumVgprs: 26
; ScratchSize: 0
; MemoryBound: 0
; FloatMode: 240
; IeeeMode: 1
; LDSByteSize: 8448 bytes/workgroup (compile time only)
; SGPRBlocks: 5
; VGPRBlocks: 3
; NumSGPRsForWavesPerEU: 43
; NumVGPRsForWavesPerEU: 26
; AccumOffset: 28
; Occupancy: 8
; WaveLimiterHint : 1
; COMPUTE_PGM_RSRC2:SCRATCH_EN: 0
; COMPUTE_PGM_RSRC2:USER_SGPR: 8
; COMPUTE_PGM_RSRC2:TRAP_HANDLER: 0
; COMPUTE_PGM_RSRC2:TGID_X_EN: 1
; COMPUTE_PGM_RSRC2:TGID_Y_EN: 0
; COMPUTE_PGM_RSRC2:TGID_Z_EN: 0
; COMPUTE_PGM_RSRC2:TIDIG_COMP_CNT: 2
; COMPUTE_PGM_RSRC3_GFX90A:ACCUM_OFFSET: 6
; COMPUTE_PGM_RSRC3_GFX90A:TG_SPLIT: 0
	.section	.text._ZN9rocsparseL12csrsv_kernelILj1024ELj64ELb1EllfEEvT3_NS_24const_host_device_scalarIT4_EEPKT2_PKS1_PKS3_SB_lPS3_PiS9_iPS1_21rocsparse_index_base_20rocsparse_fill_mode_20rocsparse_diag_type_b,"axG",@progbits,_ZN9rocsparseL12csrsv_kernelILj1024ELj64ELb1EllfEEvT3_NS_24const_host_device_scalarIT4_EEPKT2_PKS1_PKS3_SB_lPS3_PiS9_iPS1_21rocsparse_index_base_20rocsparse_fill_mode_20rocsparse_diag_type_b,comdat
	.globl	_ZN9rocsparseL12csrsv_kernelILj1024ELj64ELb1EllfEEvT3_NS_24const_host_device_scalarIT4_EEPKT2_PKS1_PKS3_SB_lPS3_PiS9_iPS1_21rocsparse_index_base_20rocsparse_fill_mode_20rocsparse_diag_type_b ; -- Begin function _ZN9rocsparseL12csrsv_kernelILj1024ELj64ELb1EllfEEvT3_NS_24const_host_device_scalarIT4_EEPKT2_PKS1_PKS3_SB_lPS3_PiS9_iPS1_21rocsparse_index_base_20rocsparse_fill_mode_20rocsparse_diag_type_b
	.p2align	8
	.type	_ZN9rocsparseL12csrsv_kernelILj1024ELj64ELb1EllfEEvT3_NS_24const_host_device_scalarIT4_EEPKT2_PKS1_PKS3_SB_lPS3_PiS9_iPS1_21rocsparse_index_base_20rocsparse_fill_mode_20rocsparse_diag_type_b,@function
_ZN9rocsparseL12csrsv_kernelILj1024ELj64ELb1EllfEEvT3_NS_24const_host_device_scalarIT4_EEPKT2_PKS1_PKS3_SB_lPS3_PiS9_iPS1_21rocsparse_index_base_20rocsparse_fill_mode_20rocsparse_diag_type_b: ; @_ZN9rocsparseL12csrsv_kernelILj1024ELj64ELb1EllfEEvT3_NS_24const_host_device_scalarIT4_EEPKT2_PKS1_PKS3_SB_lPS3_PiS9_iPS1_21rocsparse_index_base_20rocsparse_fill_mode_20rocsparse_diag_type_b
; %bb.0:
	s_load_dwordx4 s[8:11], s[4:5], 0x60
	s_load_dwordx4 s[0:3], s[4:5], 0x0
	s_waitcnt lgkmcnt(0)
	s_bitcmp1_b32 s11, 0
	s_cselect_b64 s[12:13], -1, 0
	s_and_b64 vcc, exec, s[12:13]
	s_cbranch_vccnz .LBB24_2
; %bb.1:
	s_load_dword s2, s[2:3], 0x0
.LBB24_2:
	v_lshrrev_b32_e32 v1, 6, v0
	v_mov_b32_e32 v2, s0
	v_readfirstlane_b32 s11, v1
	s_lshl_b32 s0, s6, 4
	v_mov_b32_e32 v3, s1
	s_add_i32 s0, s11, s0
	s_mov_b32 s1, 0
	v_cmp_ge_i64_e32 vcc, s[0:1], v[2:3]
	s_cbranch_vccnz .LBB24_48
; %bb.3:
	s_load_dword s6, s[4:5], 0x50
	s_load_dwordx2 s[12:13], s[4:5], 0x48
	s_lshl_b64 s[0:1], s[0:1], 3
	v_and_b32_e32 v6, 63, v0
	v_cmp_eq_u32_e32 vcc, 0, v6
	s_waitcnt lgkmcnt(0)
	s_ashr_i32 s7, s6, 31
	s_add_u32 s3, s12, s0
	s_addc_u32 s12, s13, s1
	s_lshl_b64 s[0:1], s[6:7], 3
	s_add_u32 s0, s3, s0
	s_addc_u32 s1, s12, s1
	s_load_dwordx2 s[6:7], s[0:1], 0x0
	s_load_dwordx2 s[16:17], s[4:5], 0x10
	s_load_dwordx4 s[12:15], s[4:5], 0x38
	v_mov_b32_e32 v7, 0
	s_waitcnt lgkmcnt(0)
	s_lshl_b64 s[0:1], s[6:7], 3
	s_add_u32 s0, s16, s0
	s_addc_u32 s1, s17, s1
	s_load_dwordx4 s[16:19], s[0:1], 0x0
	s_and_saveexec_b64 s[0:1], vcc
	s_cbranch_execz .LBB24_5
; %bb.4:
	s_load_dwordx4 s[20:23], s[4:5], 0x28
	s_waitcnt lgkmcnt(0)
	s_mul_i32 s3, s6, s23
	s_mul_hi_u32 s23, s6, s22
	s_mul_i32 s24, s7, s22
	s_add_i32 s3, s23, s3
	s_add_i32 s23, s3, s24
	s_mul_i32 s22, s6, s22
	s_lshl_b64 s[22:23], s[22:23], 2
	s_add_u32 s20, s20, s22
	s_addc_u32 s21, s21, s23
	s_load_dword s3, s[20:21], 0x0
	s_waitcnt lgkmcnt(0)
	v_mov_b32_e32 v0, s3
	v_mul_f32_e32 v7, s2, v0
.LBB24_5:
	s_or_b64 exec, exec, s[0:1]
	v_subrev_co_u32_e32 v0, vcc, s8, v6
	s_waitcnt lgkmcnt(0)
	s_sub_u32 s20, s18, s8
	v_subb_co_u32_e64 v1, s[2:3], 0, 0, vcc
	v_mov_b32_e32 v2, s17
	v_add_co_u32_e32 v0, vcc, s16, v0
	s_subb_u32 s21, s19, 0
	v_addc_co_u32_e32 v1, vcc, v2, v1, vcc
	s_mov_b32 s0, 0
	v_cmp_gt_i64_e32 vcc, s[20:21], v[0:1]
	s_and_saveexec_b64 s[22:23], vcc
	s_cbranch_execz .LBB24_45
; %bb.6:
	s_load_dwordx2 s[24:25], s[4:5], 0x58
	s_load_dwordx4 s[16:19], s[4:5], 0x18
	s_cmp_eq_u32 s10, 0
	s_cselect_b64 s[26:27], -1, 0
	s_add_u32 s28, s6, s8
	v_cndmask_b32_e64 v2, 0, 1, s[26:27]
	s_mov_b32 s33, s8
	s_addc_u32 s29, s7, 0
	s_lshl_b32 s8, s11, 2
	s_mov_b64 s[30:31], 0
	s_waitcnt lgkmcnt(0)
	v_mov_b32_e32 v8, s17
	v_mov_b32_e32 v9, s0
	;; [unrolled: 1-line block ×4, first 2 shown]
	v_cmp_ne_u32_e64 s[0:1], 1, v2
	s_branch .LBB24_8
.LBB24_7:                               ;   in Loop: Header=BB24_8 Depth=1
	s_or_b64 exec, exec, s[34:35]
	s_and_b64 s[2:3], exec, s[2:3]
	s_or_b64 s[30:31], s[2:3], s[30:31]
	v_mov_b32_e32 v7, v4
	s_andn2_b64 exec, exec, s[30:31]
	s_cbranch_execz .LBB24_44
.LBB24_8:                               ; =>This Loop Header: Depth=1
                                        ;     Child Loop BB24_34 Depth 2
                                        ;       Child Loop BB24_35 Depth 3
	v_lshlrev_b64 v[2:3], 3, v[0:1]
	v_add_co_u32_e32 v2, vcc, s16, v2
	v_addc_co_u32_e32 v3, vcc, v8, v3, vcc
	global_load_dwordx2 v[2:3], v[2:3], off glc slc
	v_lshlrev_b64 v[4:5], 2, v[0:1]
	v_add_co_u32_e32 v4, vcc, s18, v4
	v_addc_co_u32_e32 v5, vcc, v10, v5, vcc
	global_load_dword v12, v[4:5], off glc slc
	s_waitcnt vmcnt(1)
	v_subrev_co_u32_e32 v2, vcc, s33, v2
	v_subb_co_u32_e32 v3, vcc, v3, v9, vcc
	v_cmp_eq_u64_e32 vcc, s[6:7], v[2:3]
	s_and_b64 s[4:5], s[26:27], vcc
	s_waitcnt vmcnt(0)
	v_cmp_eq_f32_e64 s[2:3], 0, v12
	s_and_b64 s[2:3], s[2:3], s[4:5]
	s_and_saveexec_b64 s[4:5], s[2:3]
	s_cbranch_execz .LBB24_12
; %bb.9:                                ;   in Loop: Header=BB24_8 Depth=1
	v_mbcnt_lo_u32_b32 v4, exec_lo, 0
	v_mbcnt_hi_u32_b32 v4, exec_hi, v4
	v_cmp_eq_u32_e64 s[2:3], 0, v4
	s_and_saveexec_b64 s[34:35], s[2:3]
	s_cbranch_execz .LBB24_11
; %bb.10:                               ;   in Loop: Header=BB24_8 Depth=1
	v_pk_mov_b32 v[4:5], s[28:29], s[28:29] op_sel:[0,1]
	global_atomic_umin_x2 v11, v[4:5], s[24:25]
.LBB24_11:                              ;   in Loop: Header=BB24_8 Depth=1
	s_or_b64 exec, exec, s[34:35]
	v_mov_b32_e32 v12, 1.0
.LBB24_12:                              ;   in Loop: Header=BB24_8 Depth=1
	s_or_b64 exec, exec, s[4:5]
	v_cmp_ne_u64_e64 s[2:3], s[6:7], v[2:3]
	s_cmp_lt_i32 s9, 1
	s_mov_b64 s[34:35], 0
	s_cbranch_scc1 .LBB24_21
; %bb.13:                               ;   in Loop: Header=BB24_8 Depth=1
	s_cmp_eq_u32 s9, 1
	s_cbranch_scc0 .LBB24_22
; %bb.14:                               ;   in Loop: Header=BB24_8 Depth=1
	v_cmp_le_i64_e64 s[4:5], s[6:7], v[2:3]
	s_mov_b64 s[36:37], 0
	s_and_saveexec_b64 s[38:39], s[4:5]
	s_cbranch_execz .LBB24_20
; %bb.15:                               ;   in Loop: Header=BB24_8 Depth=1
	s_mov_b64 s[36:37], -1
	s_and_saveexec_b64 s[4:5], vcc
	s_xor_b64 s[4:5], exec, s[4:5]
	s_cbranch_execz .LBB24_19
; %bb.16:                               ;   in Loop: Header=BB24_8 Depth=1
	s_and_b64 vcc, exec, s[0:1]
	s_cbranch_vccnz .LBB24_18
; %bb.17:                               ;   in Loop: Header=BB24_8 Depth=1
	v_div_scale_f32 v4, s[36:37], v12, v12, 1.0
	v_rcp_f32_e32 v5, v4
	v_div_scale_f32 v13, vcc, 1.0, v12, 1.0
	v_fma_f32 v14, -v4, v5, 1.0
	v_fmac_f32_e32 v5, v14, v5
	v_mul_f32_e32 v14, v13, v5
	v_fma_f32 v15, -v4, v14, v13
	v_fmac_f32_e32 v14, v15, v5
	v_fma_f32 v4, -v4, v14, v13
	v_div_fmas_f32 v4, v4, v5, v14
	v_div_fixup_f32 v4, v4, v12, 1.0
	v_mov_b32_e32 v5, s8
	ds_write_b32 v5, v4
.LBB24_18:                              ;   in Loop: Header=BB24_8 Depth=1
	s_xor_b64 s[36:37], exec, -1
.LBB24_19:                              ;   in Loop: Header=BB24_8 Depth=1
	s_or_b64 exec, exec, s[4:5]
	s_and_b64 s[36:37], s[36:37], exec
.LBB24_20:                              ;   in Loop: Header=BB24_8 Depth=1
	s_or_b64 exec, exec, s[38:39]
	s_mov_b32 s17, 4
	v_mov_b32_e32 v4, v7
	s_branch .LBB24_23
.LBB24_21:                              ;   in Loop: Header=BB24_8 Depth=1
	s_mov_b64 s[36:37], 0
                                        ; implicit-def: $sgpr17
                                        ; implicit-def: $vgpr4
	s_cbranch_execnz .LBB24_24
	s_branch .LBB24_26
.LBB24_22:                              ;   in Loop: Header=BB24_8 Depth=1
	s_mov_b64 s[36:37], -1
                                        ; implicit-def: $sgpr17
                                        ; implicit-def: $vgpr4
.LBB24_23:                              ;   in Loop: Header=BB24_8 Depth=1
	s_branch .LBB24_26
.LBB24_24:                              ;   in Loop: Header=BB24_8 Depth=1
	s_cmp_eq_u32 s9, 0
	s_cbranch_scc1 .LBB24_28
; %bb.25:                               ;   in Loop: Header=BB24_8 Depth=1
	s_mov_b64 s[36:37], -1
                                        ; implicit-def: $sgpr17
                                        ; implicit-def: $vgpr4
.LBB24_26:                              ;   in Loop: Header=BB24_8 Depth=1
	v_mov_b32_e32 v5, s17
	s_and_saveexec_b64 s[2:3], s[36:37]
	s_cbranch_execnz .LBB24_31
.LBB24_27:                              ;   in Loop: Header=BB24_8 Depth=1
	s_or_b64 exec, exec, s[2:3]
	s_and_saveexec_b64 s[2:3], s[34:35]
	s_cbranch_execnz .LBB24_37
	s_branch .LBB24_40
.LBB24_28:                              ;   in Loop: Header=BB24_8 Depth=1
	v_cmp_ge_i64_e32 vcc, s[6:7], v[2:3]
	s_mov_b64 s[36:37], 0
	s_and_saveexec_b64 s[4:5], vcc
; %bb.29:                               ;   in Loop: Header=BB24_8 Depth=1
	s_mov_b64 s[34:35], exec
	s_and_b64 s[36:37], s[2:3], exec
; %bb.30:                               ;   in Loop: Header=BB24_8 Depth=1
	s_or_b64 exec, exec, s[4:5]
	s_mov_b32 s17, 2
	v_mov_b32_e32 v4, v7
	v_mov_b32_e32 v5, s17
	s_and_saveexec_b64 s[2:3], s[36:37]
	s_cbranch_execz .LBB24_27
.LBB24_31:                              ;   in Loop: Header=BB24_8 Depth=1
	v_lshlrev_b64 v[2:3], 2, v[2:3]
	v_mov_b32_e32 v5, s15
	v_add_co_u32_e32 v4, vcc, s14, v2
	v_addc_co_u32_e32 v5, vcc, v5, v3, vcc
	global_load_dword v13, v[4:5], off glc
	s_waitcnt vmcnt(0)
	v_cmp_eq_u32_e32 vcc, 0, v13
	s_and_saveexec_b64 s[4:5], vcc
	s_cbranch_execz .LBB24_36
; %bb.32:                               ;   in Loop: Header=BB24_8 Depth=1
	s_mov_b32 s17, 0
	s_mov_b64 s[36:37], 0
	s_branch .LBB24_34
.LBB24_33:                              ;   in Loop: Header=BB24_34 Depth=2
	global_load_dword v13, v[4:5], off glc
	s_cmpk_lt_u32 s17, 0xf43
	s_cselect_b64 s[38:39], -1, 0
	s_cmp_lg_u64 s[38:39], 0
	s_addc_u32 s17, s17, 0
	s_waitcnt vmcnt(0)
	v_cmp_ne_u32_e32 vcc, 0, v13
	s_or_b64 s[36:37], vcc, s[36:37]
	s_andn2_b64 exec, exec, s[36:37]
	s_cbranch_execz .LBB24_36
.LBB24_34:                              ;   Parent Loop BB24_8 Depth=1
                                        ; =>  This Loop Header: Depth=2
                                        ;       Child Loop BB24_35 Depth 3
	s_cmp_eq_u32 s17, 0
	s_mov_b32 s19, s17
	s_cbranch_scc1 .LBB24_33
.LBB24_35:                              ;   Parent Loop BB24_8 Depth=1
                                        ;     Parent Loop BB24_34 Depth=2
                                        ; =>    This Inner Loop Header: Depth=3
	s_add_i32 s19, s19, -1
	s_cmp_eq_u32 s19, 0
	s_sleep 1
	s_cbranch_scc0 .LBB24_35
	s_branch .LBB24_33
.LBB24_36:                              ;   in Loop: Header=BB24_8 Depth=1
	s_or_b64 exec, exec, s[4:5]
	v_mov_b32_e32 v4, s13
	v_add_co_u32_e32 v2, vcc, s12, v2
	v_addc_co_u32_e32 v3, vcc, v4, v3, vcc
	s_waitcnt lgkmcnt(0)
	buffer_wbinvl1_vol
	global_load_dword v2, v[2:3], off
	v_mov_b32_e32 v5, 0
	s_andn2_b64 s[34:35], s[34:35], exec
	s_waitcnt vmcnt(0)
	v_fma_f32 v4, -v12, v2, v7
	s_or_b64 exec, exec, s[2:3]
	s_and_saveexec_b64 s[2:3], s[34:35]
	s_cbranch_execz .LBB24_40
.LBB24_37:                              ;   in Loop: Header=BB24_8 Depth=1
	s_and_b64 vcc, exec, s[0:1]
	s_cbranch_vccnz .LBB24_39
; %bb.38:                               ;   in Loop: Header=BB24_8 Depth=1
	v_div_scale_f32 v2, s[4:5], v12, v12, 1.0
	v_rcp_f32_e32 v3, v2
	v_div_scale_f32 v4, vcc, 1.0, v12, 1.0
	v_fma_f32 v5, -v2, v3, 1.0
	v_fmac_f32_e32 v3, v5, v3
	v_mul_f32_e32 v5, v4, v3
	v_fma_f32 v13, -v2, v5, v4
	v_fmac_f32_e32 v5, v13, v3
	v_fma_f32 v2, -v2, v5, v4
	v_div_fmas_f32 v2, v2, v3, v5
	v_div_fixup_f32 v2, v2, v12, 1.0
	v_mov_b32_e32 v3, s8
	ds_write_b32 v3, v2
.LBB24_39:                              ;   in Loop: Header=BB24_8 Depth=1
	v_mov_b32_e32 v5, 2
	v_mov_b32_e32 v4, v7
.LBB24_40:                              ;   in Loop: Header=BB24_8 Depth=1
	s_or_b64 exec, exec, s[2:3]
	v_cmp_gt_i32_e32 vcc, 4, v5
	s_mov_b64 s[2:3], -1
	s_mov_b64 s[4:5], -1
	s_and_saveexec_b64 s[34:35], vcc
; %bb.41:                               ;   in Loop: Header=BB24_8 Depth=1
	v_cmp_eq_u32_e32 vcc, 0, v5
	s_orn2_b64 s[4:5], vcc, exec
; %bb.42:                               ;   in Loop: Header=BB24_8 Depth=1
	s_or_b64 exec, exec, s[34:35]
	s_and_saveexec_b64 s[34:35], s[4:5]
	s_cbranch_execz .LBB24_7
; %bb.43:                               ;   in Loop: Header=BB24_8 Depth=1
	v_add_co_u32_e32 v0, vcc, 64, v0
	v_addc_co_u32_e32 v1, vcc, 0, v1, vcc
	v_cmp_le_i64_e32 vcc, s[20:21], v[0:1]
	s_orn2_b64 s[2:3], vcc, exec
	s_branch .LBB24_7
.LBB24_44:
	s_or_b64 exec, exec, s[30:31]
	v_mov_b32_e32 v7, v4
.LBB24_45:
	s_or_b64 exec, exec, s[22:23]
	s_nop 0
	v_mov_b32_dpp v0, v7 row_shr:1 row_mask:0xf bank_mask:0xf
	v_add_f32_e32 v0, v7, v0
	s_cmp_lg_u32 s10, 0
	s_nop 0
	v_mov_b32_dpp v1, v0 row_shr:2 row_mask:0xf bank_mask:0xf
	v_add_f32_e32 v0, v0, v1
	s_nop 1
	v_mov_b32_dpp v1, v0 row_shr:4 row_mask:0xf bank_mask:0xe
	v_add_f32_e32 v0, v0, v1
	;; [unrolled: 3-line block ×3, first 2 shown]
	s_nop 1
	v_mov_b32_dpp v1, v0 row_bcast:15 row_mask:0xa bank_mask:0xf
	v_add_f32_e32 v0, v0, v1
	s_nop 1
	v_mov_b32_dpp v1, v0 row_bcast:31 row_mask:0xc bank_mask:0xf
	v_add_f32_e32 v0, v0, v1
	s_cbranch_scc0 .LBB24_49
; %bb.46:
	v_cmp_eq_u32_e32 vcc, 63, v6
	s_and_saveexec_b64 s[0:1], vcc
	s_cbranch_execz .LBB24_48
.LBB24_47:
	s_lshl_b64 s[0:1], s[6:7], 2
	s_add_u32 s2, s12, s0
	s_addc_u32 s3, s13, s1
	v_mov_b32_e32 v1, 0
	s_add_u32 s0, s14, s0
	s_addc_u32 s1, s15, s1
	global_store_dword v1, v0, s[2:3] glc slc
	v_mov_b32_e32 v0, 1
	s_waitcnt vmcnt(0)
	global_store_dword v1, v0, s[0:1]
.LBB24_48:
	s_endpgm
.LBB24_49:
	s_lshl_b32 s0, s11, 2
	v_mov_b32_e32 v1, s0
	s_waitcnt lgkmcnt(0)
	ds_read_b32 v1, v1
	s_waitcnt lgkmcnt(0)
	v_mul_f32_e32 v0, v0, v1
	v_cmp_eq_u32_e32 vcc, 63, v6
	s_and_saveexec_b64 s[0:1], vcc
	s_cbranch_execnz .LBB24_47
	s_branch .LBB24_48
	.section	.rodata,"a",@progbits
	.p2align	6, 0x0
	.amdhsa_kernel _ZN9rocsparseL12csrsv_kernelILj1024ELj64ELb1EllfEEvT3_NS_24const_host_device_scalarIT4_EEPKT2_PKS1_PKS3_SB_lPS3_PiS9_iPS1_21rocsparse_index_base_20rocsparse_fill_mode_20rocsparse_diag_type_b
		.amdhsa_group_segment_fixed_size 64
		.amdhsa_private_segment_fixed_size 0
		.amdhsa_kernarg_size 112
		.amdhsa_user_sgpr_count 6
		.amdhsa_user_sgpr_private_segment_buffer 1
		.amdhsa_user_sgpr_dispatch_ptr 0
		.amdhsa_user_sgpr_queue_ptr 0
		.amdhsa_user_sgpr_kernarg_segment_ptr 1
		.amdhsa_user_sgpr_dispatch_id 0
		.amdhsa_user_sgpr_flat_scratch_init 0
		.amdhsa_user_sgpr_kernarg_preload_length 0
		.amdhsa_user_sgpr_kernarg_preload_offset 0
		.amdhsa_user_sgpr_private_segment_size 0
		.amdhsa_uses_dynamic_stack 0
		.amdhsa_system_sgpr_private_segment_wavefront_offset 0
		.amdhsa_system_sgpr_workgroup_id_x 1
		.amdhsa_system_sgpr_workgroup_id_y 0
		.amdhsa_system_sgpr_workgroup_id_z 0
		.amdhsa_system_sgpr_workgroup_info 0
		.amdhsa_system_vgpr_workitem_id 0
		.amdhsa_next_free_vgpr 16
		.amdhsa_next_free_sgpr 40
		.amdhsa_accum_offset 16
		.amdhsa_reserve_vcc 1
		.amdhsa_reserve_flat_scratch 0
		.amdhsa_float_round_mode_32 0
		.amdhsa_float_round_mode_16_64 0
		.amdhsa_float_denorm_mode_32 3
		.amdhsa_float_denorm_mode_16_64 3
		.amdhsa_dx10_clamp 1
		.amdhsa_ieee_mode 1
		.amdhsa_fp16_overflow 0
		.amdhsa_tg_split 0
		.amdhsa_exception_fp_ieee_invalid_op 0
		.amdhsa_exception_fp_denorm_src 0
		.amdhsa_exception_fp_ieee_div_zero 0
		.amdhsa_exception_fp_ieee_overflow 0
		.amdhsa_exception_fp_ieee_underflow 0
		.amdhsa_exception_fp_ieee_inexact 0
		.amdhsa_exception_int_div_zero 0
	.end_amdhsa_kernel
	.section	.text._ZN9rocsparseL12csrsv_kernelILj1024ELj64ELb1EllfEEvT3_NS_24const_host_device_scalarIT4_EEPKT2_PKS1_PKS3_SB_lPS3_PiS9_iPS1_21rocsparse_index_base_20rocsparse_fill_mode_20rocsparse_diag_type_b,"axG",@progbits,_ZN9rocsparseL12csrsv_kernelILj1024ELj64ELb1EllfEEvT3_NS_24const_host_device_scalarIT4_EEPKT2_PKS1_PKS3_SB_lPS3_PiS9_iPS1_21rocsparse_index_base_20rocsparse_fill_mode_20rocsparse_diag_type_b,comdat
.Lfunc_end24:
	.size	_ZN9rocsparseL12csrsv_kernelILj1024ELj64ELb1EllfEEvT3_NS_24const_host_device_scalarIT4_EEPKT2_PKS1_PKS3_SB_lPS3_PiS9_iPS1_21rocsparse_index_base_20rocsparse_fill_mode_20rocsparse_diag_type_b, .Lfunc_end24-_ZN9rocsparseL12csrsv_kernelILj1024ELj64ELb1EllfEEvT3_NS_24const_host_device_scalarIT4_EEPKT2_PKS1_PKS3_SB_lPS3_PiS9_iPS1_21rocsparse_index_base_20rocsparse_fill_mode_20rocsparse_diag_type_b
                                        ; -- End function
	.section	.AMDGPU.csdata,"",@progbits
; Kernel info:
; codeLenInByte = 1452
; NumSgprs: 44
; NumVgprs: 16
; NumAgprs: 0
; TotalNumVgprs: 16
; ScratchSize: 0
; MemoryBound: 0
; FloatMode: 240
; IeeeMode: 1
; LDSByteSize: 64 bytes/workgroup (compile time only)
; SGPRBlocks: 5
; VGPRBlocks: 1
; NumSGPRsForWavesPerEU: 44
; NumVGPRsForWavesPerEU: 16
; AccumOffset: 16
; Occupancy: 8
; WaveLimiterHint : 1
; COMPUTE_PGM_RSRC2:SCRATCH_EN: 0
; COMPUTE_PGM_RSRC2:USER_SGPR: 6
; COMPUTE_PGM_RSRC2:TRAP_HANDLER: 0
; COMPUTE_PGM_RSRC2:TGID_X_EN: 1
; COMPUTE_PGM_RSRC2:TGID_Y_EN: 0
; COMPUTE_PGM_RSRC2:TGID_Z_EN: 0
; COMPUTE_PGM_RSRC2:TIDIG_COMP_CNT: 0
; COMPUTE_PGM_RSRC3_GFX90A:ACCUM_OFFSET: 3
; COMPUTE_PGM_RSRC3_GFX90A:TG_SPLIT: 0
	.section	.text._ZN9rocsparseL12csrsv_kernelILj1024ELj32ELb0EllfEEvT3_NS_24const_host_device_scalarIT4_EEPKT2_PKS1_PKS3_SB_lPS3_PiS9_iPS1_21rocsparse_index_base_20rocsparse_fill_mode_20rocsparse_diag_type_b,"axG",@progbits,_ZN9rocsparseL12csrsv_kernelILj1024ELj32ELb0EllfEEvT3_NS_24const_host_device_scalarIT4_EEPKT2_PKS1_PKS3_SB_lPS3_PiS9_iPS1_21rocsparse_index_base_20rocsparse_fill_mode_20rocsparse_diag_type_b,comdat
	.globl	_ZN9rocsparseL12csrsv_kernelILj1024ELj32ELb0EllfEEvT3_NS_24const_host_device_scalarIT4_EEPKT2_PKS1_PKS3_SB_lPS3_PiS9_iPS1_21rocsparse_index_base_20rocsparse_fill_mode_20rocsparse_diag_type_b ; -- Begin function _ZN9rocsparseL12csrsv_kernelILj1024ELj32ELb0EllfEEvT3_NS_24const_host_device_scalarIT4_EEPKT2_PKS1_PKS3_SB_lPS3_PiS9_iPS1_21rocsparse_index_base_20rocsparse_fill_mode_20rocsparse_diag_type_b
	.p2align	8
	.type	_ZN9rocsparseL12csrsv_kernelILj1024ELj32ELb0EllfEEvT3_NS_24const_host_device_scalarIT4_EEPKT2_PKS1_PKS3_SB_lPS3_PiS9_iPS1_21rocsparse_index_base_20rocsparse_fill_mode_20rocsparse_diag_type_b,@function
_ZN9rocsparseL12csrsv_kernelILj1024ELj32ELb0EllfEEvT3_NS_24const_host_device_scalarIT4_EEPKT2_PKS1_PKS3_SB_lPS3_PiS9_iPS1_21rocsparse_index_base_20rocsparse_fill_mode_20rocsparse_diag_type_b: ; @_ZN9rocsparseL12csrsv_kernelILj1024ELj32ELb0EllfEEvT3_NS_24const_host_device_scalarIT4_EEPKT2_PKS1_PKS3_SB_lPS3_PiS9_iPS1_21rocsparse_index_base_20rocsparse_fill_mode_20rocsparse_diag_type_b
; %bb.0:
	s_load_dwordx4 s[8:11], s[4:5], 0x60
	s_load_dwordx4 s[0:3], s[4:5], 0x0
	s_waitcnt lgkmcnt(0)
	s_bitcmp1_b32 s11, 0
	s_cselect_b64 s[12:13], -1, 0
	s_and_b64 vcc, exec, s[12:13]
	s_cbranch_vccnz .LBB25_2
; %bb.1:
	s_load_dword s2, s[2:3], 0x0
.LBB25_2:
	v_lshrrev_b32_e32 v1, 5, v0
	v_mov_b32_e32 v2, s0
	v_readfirstlane_b32 s11, v1
	s_lshl_b32 s0, s6, 5
	v_mov_b32_e32 v3, s1
	s_add_i32 s0, s11, s0
	s_mov_b32 s1, 0
	v_cmp_ge_i64_e32 vcc, s[0:1], v[2:3]
	s_cbranch_vccnz .LBB25_46
; %bb.3:
	s_load_dword s6, s[4:5], 0x50
	s_load_dwordx2 s[12:13], s[4:5], 0x48
	s_lshl_b64 s[0:1], s[0:1], 3
	v_and_b32_e32 v6, 31, v0
	v_cmp_eq_u32_e32 vcc, 0, v6
	s_waitcnt lgkmcnt(0)
	s_ashr_i32 s7, s6, 31
	s_add_u32 s3, s12, s0
	s_addc_u32 s12, s13, s1
	s_lshl_b64 s[0:1], s[6:7], 3
	s_add_u32 s0, s3, s0
	s_addc_u32 s1, s12, s1
	s_load_dwordx2 s[6:7], s[0:1], 0x0
	s_load_dwordx2 s[16:17], s[4:5], 0x10
	s_load_dwordx4 s[12:15], s[4:5], 0x38
	v_mov_b32_e32 v7, 0
	s_waitcnt lgkmcnt(0)
	s_lshl_b64 s[0:1], s[6:7], 3
	s_add_u32 s0, s16, s0
	s_addc_u32 s1, s17, s1
	s_load_dwordx4 s[16:19], s[0:1], 0x0
	s_and_saveexec_b64 s[0:1], vcc
	s_cbranch_execz .LBB25_5
; %bb.4:
	s_load_dwordx4 s[20:23], s[4:5], 0x28
	s_waitcnt lgkmcnt(0)
	s_mul_i32 s3, s6, s23
	s_mul_hi_u32 s23, s6, s22
	s_mul_i32 s24, s7, s22
	s_add_i32 s3, s23, s3
	s_add_i32 s23, s3, s24
	s_mul_i32 s22, s6, s22
	s_lshl_b64 s[22:23], s[22:23], 2
	s_add_u32 s20, s20, s22
	s_addc_u32 s21, s21, s23
	s_load_dword s3, s[20:21], 0x0
	s_waitcnt lgkmcnt(0)
	v_mov_b32_e32 v0, s3
	v_mul_f32_e32 v7, s2, v0
.LBB25_5:
	s_or_b64 exec, exec, s[0:1]
	v_subrev_co_u32_e32 v0, vcc, s8, v6
	s_waitcnt lgkmcnt(0)
	s_sub_u32 s20, s18, s8
	v_subb_co_u32_e64 v1, s[2:3], 0, 0, vcc
	v_mov_b32_e32 v2, s17
	v_add_co_u32_e32 v0, vcc, s16, v0
	s_subb_u32 s21, s19, 0
	v_addc_co_u32_e32 v1, vcc, v2, v1, vcc
	s_mov_b32 s0, 0
	v_cmp_gt_i64_e32 vcc, s[20:21], v[0:1]
	s_and_saveexec_b64 s[22:23], vcc
	s_cbranch_execz .LBB25_43
; %bb.6:
	s_load_dwordx2 s[24:25], s[4:5], 0x58
	s_load_dwordx4 s[16:19], s[4:5], 0x18
	s_cmp_eq_u32 s10, 0
	s_cselect_b64 s[26:27], -1, 0
	s_add_u32 s28, s6, s8
	v_cndmask_b32_e64 v2, 0, 1, s[26:27]
	s_mov_b32 s33, s8
	s_addc_u32 s29, s7, 0
	s_lshl_b32 s8, s11, 2
	s_mov_b64 s[30:31], 0
	s_waitcnt lgkmcnt(0)
	v_mov_b32_e32 v8, s17
	v_mov_b32_e32 v9, s0
	v_mov_b32_e32 v10, s19
	v_mov_b32_e32 v11, 0
	v_cmp_ne_u32_e64 s[0:1], 1, v2
	s_branch .LBB25_8
.LBB25_7:                               ;   in Loop: Header=BB25_8 Depth=1
	s_or_b64 exec, exec, s[34:35]
	s_and_b64 s[2:3], exec, s[2:3]
	s_or_b64 s[30:31], s[2:3], s[30:31]
	v_mov_b32_e32 v7, v4
	s_andn2_b64 exec, exec, s[30:31]
	s_cbranch_execz .LBB25_42
.LBB25_8:                               ; =>This Loop Header: Depth=1
                                        ;     Child Loop BB25_33 Depth 2
	v_lshlrev_b64 v[2:3], 3, v[0:1]
	v_add_co_u32_e32 v2, vcc, s16, v2
	v_addc_co_u32_e32 v3, vcc, v8, v3, vcc
	global_load_dwordx2 v[2:3], v[2:3], off glc slc
	v_lshlrev_b64 v[4:5], 2, v[0:1]
	v_add_co_u32_e32 v4, vcc, s18, v4
	v_addc_co_u32_e32 v5, vcc, v10, v5, vcc
	global_load_dword v12, v[4:5], off glc slc
	s_waitcnt vmcnt(1)
	v_subrev_co_u32_e32 v2, vcc, s33, v2
	v_subb_co_u32_e32 v3, vcc, v3, v9, vcc
	v_cmp_eq_u64_e32 vcc, s[6:7], v[2:3]
	s_and_b64 s[4:5], s[26:27], vcc
	s_waitcnt vmcnt(0)
	v_cmp_eq_f32_e64 s[2:3], 0, v12
	s_and_b64 s[2:3], s[2:3], s[4:5]
	s_and_saveexec_b64 s[4:5], s[2:3]
	s_cbranch_execz .LBB25_12
; %bb.9:                                ;   in Loop: Header=BB25_8 Depth=1
	v_mbcnt_lo_u32_b32 v4, exec_lo, 0
	v_mbcnt_hi_u32_b32 v4, exec_hi, v4
	v_cmp_eq_u32_e64 s[2:3], 0, v4
	s_and_saveexec_b64 s[34:35], s[2:3]
	s_cbranch_execz .LBB25_11
; %bb.10:                               ;   in Loop: Header=BB25_8 Depth=1
	v_pk_mov_b32 v[4:5], s[28:29], s[28:29] op_sel:[0,1]
	global_atomic_umin_x2 v11, v[4:5], s[24:25]
.LBB25_11:                              ;   in Loop: Header=BB25_8 Depth=1
	s_or_b64 exec, exec, s[34:35]
	v_mov_b32_e32 v12, 1.0
.LBB25_12:                              ;   in Loop: Header=BB25_8 Depth=1
	s_or_b64 exec, exec, s[4:5]
	v_cmp_ne_u64_e64 s[2:3], s[6:7], v[2:3]
	s_cmp_lt_i32 s9, 1
	s_mov_b64 s[34:35], 0
	s_cbranch_scc1 .LBB25_21
; %bb.13:                               ;   in Loop: Header=BB25_8 Depth=1
	s_cmp_eq_u32 s9, 1
	s_cbranch_scc0 .LBB25_22
; %bb.14:                               ;   in Loop: Header=BB25_8 Depth=1
	v_cmp_le_i64_e64 s[4:5], s[6:7], v[2:3]
	s_mov_b64 s[36:37], 0
	s_and_saveexec_b64 s[38:39], s[4:5]
	s_cbranch_execz .LBB25_20
; %bb.15:                               ;   in Loop: Header=BB25_8 Depth=1
	s_mov_b64 s[36:37], -1
	s_and_saveexec_b64 s[4:5], vcc
	s_xor_b64 s[4:5], exec, s[4:5]
	s_cbranch_execz .LBB25_19
; %bb.16:                               ;   in Loop: Header=BB25_8 Depth=1
	s_and_b64 vcc, exec, s[0:1]
	s_cbranch_vccnz .LBB25_18
; %bb.17:                               ;   in Loop: Header=BB25_8 Depth=1
	v_div_scale_f32 v4, s[36:37], v12, v12, 1.0
	v_rcp_f32_e32 v5, v4
	v_div_scale_f32 v13, vcc, 1.0, v12, 1.0
	v_fma_f32 v14, -v4, v5, 1.0
	v_fmac_f32_e32 v5, v14, v5
	v_mul_f32_e32 v14, v13, v5
	v_fma_f32 v15, -v4, v14, v13
	v_fmac_f32_e32 v14, v15, v5
	v_fma_f32 v4, -v4, v14, v13
	v_div_fmas_f32 v4, v4, v5, v14
	v_div_fixup_f32 v4, v4, v12, 1.0
	v_mov_b32_e32 v5, s8
	ds_write_b32 v5, v4
.LBB25_18:                              ;   in Loop: Header=BB25_8 Depth=1
	s_xor_b64 s[36:37], exec, -1
.LBB25_19:                              ;   in Loop: Header=BB25_8 Depth=1
	s_or_b64 exec, exec, s[4:5]
	s_and_b64 s[36:37], s[36:37], exec
.LBB25_20:                              ;   in Loop: Header=BB25_8 Depth=1
	s_or_b64 exec, exec, s[38:39]
	s_mov_b32 s17, 4
	v_mov_b32_e32 v4, v7
	s_branch .LBB25_23
.LBB25_21:                              ;   in Loop: Header=BB25_8 Depth=1
	s_mov_b64 s[36:37], 0
                                        ; implicit-def: $sgpr17
                                        ; implicit-def: $vgpr4
	s_cbranch_execnz .LBB25_24
	s_branch .LBB25_26
.LBB25_22:                              ;   in Loop: Header=BB25_8 Depth=1
	s_mov_b64 s[36:37], -1
                                        ; implicit-def: $sgpr17
                                        ; implicit-def: $vgpr4
.LBB25_23:                              ;   in Loop: Header=BB25_8 Depth=1
	s_branch .LBB25_26
.LBB25_24:                              ;   in Loop: Header=BB25_8 Depth=1
	s_cmp_eq_u32 s9, 0
	s_cbranch_scc1 .LBB25_28
; %bb.25:                               ;   in Loop: Header=BB25_8 Depth=1
	s_mov_b64 s[36:37], -1
                                        ; implicit-def: $sgpr17
                                        ; implicit-def: $vgpr4
.LBB25_26:                              ;   in Loop: Header=BB25_8 Depth=1
	v_mov_b32_e32 v5, s17
	s_and_saveexec_b64 s[2:3], s[36:37]
	s_cbranch_execnz .LBB25_31
.LBB25_27:                              ;   in Loop: Header=BB25_8 Depth=1
	s_or_b64 exec, exec, s[2:3]
	s_and_saveexec_b64 s[2:3], s[34:35]
	s_cbranch_execnz .LBB25_35
	s_branch .LBB25_38
.LBB25_28:                              ;   in Loop: Header=BB25_8 Depth=1
	v_cmp_ge_i64_e32 vcc, s[6:7], v[2:3]
	s_mov_b64 s[36:37], 0
	s_and_saveexec_b64 s[4:5], vcc
; %bb.29:                               ;   in Loop: Header=BB25_8 Depth=1
	s_mov_b64 s[34:35], exec
	s_and_b64 s[36:37], s[2:3], exec
; %bb.30:                               ;   in Loop: Header=BB25_8 Depth=1
	s_or_b64 exec, exec, s[4:5]
	s_mov_b32 s17, 2
	v_mov_b32_e32 v4, v7
	v_mov_b32_e32 v5, s17
	s_and_saveexec_b64 s[2:3], s[36:37]
	s_cbranch_execz .LBB25_27
.LBB25_31:                              ;   in Loop: Header=BB25_8 Depth=1
	v_lshlrev_b64 v[2:3], 2, v[2:3]
	v_mov_b32_e32 v5, s15
	v_add_co_u32_e32 v4, vcc, s14, v2
	v_addc_co_u32_e32 v5, vcc, v5, v3, vcc
	global_load_dword v13, v[4:5], off glc
	s_waitcnt vmcnt(0)
	v_cmp_eq_u32_e32 vcc, 0, v13
	s_and_saveexec_b64 s[4:5], vcc
	s_cbranch_execz .LBB25_34
; %bb.32:                               ;   in Loop: Header=BB25_8 Depth=1
	s_mov_b64 s[36:37], 0
.LBB25_33:                              ;   Parent Loop BB25_8 Depth=1
                                        ; =>  This Inner Loop Header: Depth=2
	global_load_dword v13, v[4:5], off glc
	s_waitcnt vmcnt(0)
	v_cmp_ne_u32_e32 vcc, 0, v13
	s_or_b64 s[36:37], vcc, s[36:37]
	s_andn2_b64 exec, exec, s[36:37]
	s_cbranch_execnz .LBB25_33
.LBB25_34:                              ;   in Loop: Header=BB25_8 Depth=1
	s_or_b64 exec, exec, s[4:5]
	v_mov_b32_e32 v4, s13
	v_add_co_u32_e32 v2, vcc, s12, v2
	v_addc_co_u32_e32 v3, vcc, v4, v3, vcc
	s_waitcnt lgkmcnt(0)
	buffer_wbinvl1_vol
	global_load_dword v2, v[2:3], off
	v_mov_b32_e32 v5, 0
	s_andn2_b64 s[34:35], s[34:35], exec
	s_waitcnt vmcnt(0)
	v_fma_f32 v4, -v12, v2, v7
	s_or_b64 exec, exec, s[2:3]
	s_and_saveexec_b64 s[2:3], s[34:35]
	s_cbranch_execz .LBB25_38
.LBB25_35:                              ;   in Loop: Header=BB25_8 Depth=1
	s_and_b64 vcc, exec, s[0:1]
	s_cbranch_vccnz .LBB25_37
; %bb.36:                               ;   in Loop: Header=BB25_8 Depth=1
	v_div_scale_f32 v2, s[4:5], v12, v12, 1.0
	v_rcp_f32_e32 v3, v2
	v_div_scale_f32 v4, vcc, 1.0, v12, 1.0
	v_fma_f32 v5, -v2, v3, 1.0
	v_fmac_f32_e32 v3, v5, v3
	v_mul_f32_e32 v5, v4, v3
	v_fma_f32 v13, -v2, v5, v4
	v_fmac_f32_e32 v5, v13, v3
	v_fma_f32 v2, -v2, v5, v4
	v_div_fmas_f32 v2, v2, v3, v5
	v_div_fixup_f32 v2, v2, v12, 1.0
	v_mov_b32_e32 v3, s8
	ds_write_b32 v3, v2
.LBB25_37:                              ;   in Loop: Header=BB25_8 Depth=1
	v_mov_b32_e32 v5, 2
	v_mov_b32_e32 v4, v7
.LBB25_38:                              ;   in Loop: Header=BB25_8 Depth=1
	s_or_b64 exec, exec, s[2:3]
	v_cmp_gt_i32_e32 vcc, 4, v5
	s_mov_b64 s[2:3], -1
	s_mov_b64 s[4:5], -1
	s_and_saveexec_b64 s[34:35], vcc
; %bb.39:                               ;   in Loop: Header=BB25_8 Depth=1
	v_cmp_eq_u32_e32 vcc, 0, v5
	s_orn2_b64 s[4:5], vcc, exec
; %bb.40:                               ;   in Loop: Header=BB25_8 Depth=1
	s_or_b64 exec, exec, s[34:35]
	s_and_saveexec_b64 s[34:35], s[4:5]
	s_cbranch_execz .LBB25_7
; %bb.41:                               ;   in Loop: Header=BB25_8 Depth=1
	v_add_co_u32_e32 v0, vcc, 32, v0
	v_addc_co_u32_e32 v1, vcc, 0, v1, vcc
	v_cmp_le_i64_e32 vcc, s[20:21], v[0:1]
	s_orn2_b64 s[2:3], vcc, exec
	s_branch .LBB25_7
.LBB25_42:
	s_or_b64 exec, exec, s[30:31]
	v_mov_b32_e32 v7, v4
.LBB25_43:
	s_or_b64 exec, exec, s[22:23]
	s_nop 0
	v_mov_b32_dpp v0, v7 row_shr:1 row_mask:0xf bank_mask:0xf
	v_add_f32_e32 v0, v7, v0
	s_cmp_lg_u32 s10, 0
	s_nop 0
	v_mov_b32_dpp v1, v0 row_shr:2 row_mask:0xf bank_mask:0xf
	v_add_f32_e32 v0, v0, v1
	s_nop 1
	v_mov_b32_dpp v1, v0 row_shr:4 row_mask:0xf bank_mask:0xe
	v_add_f32_e32 v0, v0, v1
	;; [unrolled: 3-line block ×3, first 2 shown]
	s_nop 1
	v_mov_b32_dpp v1, v0 row_bcast:15 row_mask:0xa bank_mask:0xf
	v_add_f32_e32 v0, v0, v1
	s_cbranch_scc0 .LBB25_47
; %bb.44:
	v_cmp_eq_u32_e32 vcc, 31, v6
	s_and_saveexec_b64 s[0:1], vcc
	s_cbranch_execz .LBB25_46
.LBB25_45:
	s_lshl_b64 s[0:1], s[6:7], 2
	s_add_u32 s2, s12, s0
	s_addc_u32 s3, s13, s1
	v_mov_b32_e32 v1, 0
	s_add_u32 s0, s14, s0
	s_addc_u32 s1, s15, s1
	global_store_dword v1, v0, s[2:3] glc slc
	v_mov_b32_e32 v0, 1
	s_waitcnt vmcnt(0)
	global_store_dword v1, v0, s[0:1]
.LBB25_46:
	s_endpgm
.LBB25_47:
	s_lshl_b32 s0, s11, 2
	v_mov_b32_e32 v1, s0
	s_waitcnt lgkmcnt(0)
	ds_read_b32 v1, v1
	s_waitcnt lgkmcnt(0)
	v_mul_f32_e32 v0, v0, v1
	v_cmp_eq_u32_e32 vcc, 31, v6
	s_and_saveexec_b64 s[0:1], vcc
	s_cbranch_execnz .LBB25_45
	s_branch .LBB25_46
	.section	.rodata,"a",@progbits
	.p2align	6, 0x0
	.amdhsa_kernel _ZN9rocsparseL12csrsv_kernelILj1024ELj32ELb0EllfEEvT3_NS_24const_host_device_scalarIT4_EEPKT2_PKS1_PKS3_SB_lPS3_PiS9_iPS1_21rocsparse_index_base_20rocsparse_fill_mode_20rocsparse_diag_type_b
		.amdhsa_group_segment_fixed_size 128
		.amdhsa_private_segment_fixed_size 0
		.amdhsa_kernarg_size 112
		.amdhsa_user_sgpr_count 6
		.amdhsa_user_sgpr_private_segment_buffer 1
		.amdhsa_user_sgpr_dispatch_ptr 0
		.amdhsa_user_sgpr_queue_ptr 0
		.amdhsa_user_sgpr_kernarg_segment_ptr 1
		.amdhsa_user_sgpr_dispatch_id 0
		.amdhsa_user_sgpr_flat_scratch_init 0
		.amdhsa_user_sgpr_kernarg_preload_length 0
		.amdhsa_user_sgpr_kernarg_preload_offset 0
		.amdhsa_user_sgpr_private_segment_size 0
		.amdhsa_uses_dynamic_stack 0
		.amdhsa_system_sgpr_private_segment_wavefront_offset 0
		.amdhsa_system_sgpr_workgroup_id_x 1
		.amdhsa_system_sgpr_workgroup_id_y 0
		.amdhsa_system_sgpr_workgroup_id_z 0
		.amdhsa_system_sgpr_workgroup_info 0
		.amdhsa_system_vgpr_workitem_id 0
		.amdhsa_next_free_vgpr 16
		.amdhsa_next_free_sgpr 40
		.amdhsa_accum_offset 16
		.amdhsa_reserve_vcc 1
		.amdhsa_reserve_flat_scratch 0
		.amdhsa_float_round_mode_32 0
		.amdhsa_float_round_mode_16_64 0
		.amdhsa_float_denorm_mode_32 3
		.amdhsa_float_denorm_mode_16_64 3
		.amdhsa_dx10_clamp 1
		.amdhsa_ieee_mode 1
		.amdhsa_fp16_overflow 0
		.amdhsa_tg_split 0
		.amdhsa_exception_fp_ieee_invalid_op 0
		.amdhsa_exception_fp_denorm_src 0
		.amdhsa_exception_fp_ieee_div_zero 0
		.amdhsa_exception_fp_ieee_overflow 0
		.amdhsa_exception_fp_ieee_underflow 0
		.amdhsa_exception_fp_ieee_inexact 0
		.amdhsa_exception_int_div_zero 0
	.end_amdhsa_kernel
	.section	.text._ZN9rocsparseL12csrsv_kernelILj1024ELj32ELb0EllfEEvT3_NS_24const_host_device_scalarIT4_EEPKT2_PKS1_PKS3_SB_lPS3_PiS9_iPS1_21rocsparse_index_base_20rocsparse_fill_mode_20rocsparse_diag_type_b,"axG",@progbits,_ZN9rocsparseL12csrsv_kernelILj1024ELj32ELb0EllfEEvT3_NS_24const_host_device_scalarIT4_EEPKT2_PKS1_PKS3_SB_lPS3_PiS9_iPS1_21rocsparse_index_base_20rocsparse_fill_mode_20rocsparse_diag_type_b,comdat
.Lfunc_end25:
	.size	_ZN9rocsparseL12csrsv_kernelILj1024ELj32ELb0EllfEEvT3_NS_24const_host_device_scalarIT4_EEPKT2_PKS1_PKS3_SB_lPS3_PiS9_iPS1_21rocsparse_index_base_20rocsparse_fill_mode_20rocsparse_diag_type_b, .Lfunc_end25-_ZN9rocsparseL12csrsv_kernelILj1024ELj32ELb0EllfEEvT3_NS_24const_host_device_scalarIT4_EEPKT2_PKS1_PKS3_SB_lPS3_PiS9_iPS1_21rocsparse_index_base_20rocsparse_fill_mode_20rocsparse_diag_type_b
                                        ; -- End function
	.section	.AMDGPU.csdata,"",@progbits
; Kernel info:
; codeLenInByte = 1380
; NumSgprs: 44
; NumVgprs: 16
; NumAgprs: 0
; TotalNumVgprs: 16
; ScratchSize: 0
; MemoryBound: 0
; FloatMode: 240
; IeeeMode: 1
; LDSByteSize: 128 bytes/workgroup (compile time only)
; SGPRBlocks: 5
; VGPRBlocks: 1
; NumSGPRsForWavesPerEU: 44
; NumVGPRsForWavesPerEU: 16
; AccumOffset: 16
; Occupancy: 8
; WaveLimiterHint : 1
; COMPUTE_PGM_RSRC2:SCRATCH_EN: 0
; COMPUTE_PGM_RSRC2:USER_SGPR: 6
; COMPUTE_PGM_RSRC2:TRAP_HANDLER: 0
; COMPUTE_PGM_RSRC2:TGID_X_EN: 1
; COMPUTE_PGM_RSRC2:TGID_Y_EN: 0
; COMPUTE_PGM_RSRC2:TGID_Z_EN: 0
; COMPUTE_PGM_RSRC2:TIDIG_COMP_CNT: 0
; COMPUTE_PGM_RSRC3_GFX90A:ACCUM_OFFSET: 3
; COMPUTE_PGM_RSRC3_GFX90A:TG_SPLIT: 0
	.section	.text._ZN9rocsparseL12csrsv_kernelILj1024ELj64ELb0EllfEEvT3_NS_24const_host_device_scalarIT4_EEPKT2_PKS1_PKS3_SB_lPS3_PiS9_iPS1_21rocsparse_index_base_20rocsparse_fill_mode_20rocsparse_diag_type_b,"axG",@progbits,_ZN9rocsparseL12csrsv_kernelILj1024ELj64ELb0EllfEEvT3_NS_24const_host_device_scalarIT4_EEPKT2_PKS1_PKS3_SB_lPS3_PiS9_iPS1_21rocsparse_index_base_20rocsparse_fill_mode_20rocsparse_diag_type_b,comdat
	.globl	_ZN9rocsparseL12csrsv_kernelILj1024ELj64ELb0EllfEEvT3_NS_24const_host_device_scalarIT4_EEPKT2_PKS1_PKS3_SB_lPS3_PiS9_iPS1_21rocsparse_index_base_20rocsparse_fill_mode_20rocsparse_diag_type_b ; -- Begin function _ZN9rocsparseL12csrsv_kernelILj1024ELj64ELb0EllfEEvT3_NS_24const_host_device_scalarIT4_EEPKT2_PKS1_PKS3_SB_lPS3_PiS9_iPS1_21rocsparse_index_base_20rocsparse_fill_mode_20rocsparse_diag_type_b
	.p2align	8
	.type	_ZN9rocsparseL12csrsv_kernelILj1024ELj64ELb0EllfEEvT3_NS_24const_host_device_scalarIT4_EEPKT2_PKS1_PKS3_SB_lPS3_PiS9_iPS1_21rocsparse_index_base_20rocsparse_fill_mode_20rocsparse_diag_type_b,@function
_ZN9rocsparseL12csrsv_kernelILj1024ELj64ELb0EllfEEvT3_NS_24const_host_device_scalarIT4_EEPKT2_PKS1_PKS3_SB_lPS3_PiS9_iPS1_21rocsparse_index_base_20rocsparse_fill_mode_20rocsparse_diag_type_b: ; @_ZN9rocsparseL12csrsv_kernelILj1024ELj64ELb0EllfEEvT3_NS_24const_host_device_scalarIT4_EEPKT2_PKS1_PKS3_SB_lPS3_PiS9_iPS1_21rocsparse_index_base_20rocsparse_fill_mode_20rocsparse_diag_type_b
; %bb.0:
	s_load_dwordx4 s[8:11], s[4:5], 0x60
	s_load_dwordx4 s[0:3], s[4:5], 0x0
	s_waitcnt lgkmcnt(0)
	s_bitcmp1_b32 s11, 0
	s_cselect_b64 s[12:13], -1, 0
	s_and_b64 vcc, exec, s[12:13]
	s_cbranch_vccnz .LBB26_2
; %bb.1:
	s_load_dword s2, s[2:3], 0x0
.LBB26_2:
	v_lshrrev_b32_e32 v1, 6, v0
	v_mov_b32_e32 v2, s0
	v_readfirstlane_b32 s11, v1
	s_lshl_b32 s0, s6, 4
	v_mov_b32_e32 v3, s1
	s_add_i32 s0, s11, s0
	s_mov_b32 s1, 0
	v_cmp_ge_i64_e32 vcc, s[0:1], v[2:3]
	s_cbranch_vccnz .LBB26_46
; %bb.3:
	s_load_dword s6, s[4:5], 0x50
	s_load_dwordx2 s[12:13], s[4:5], 0x48
	s_lshl_b64 s[0:1], s[0:1], 3
	v_and_b32_e32 v6, 63, v0
	v_cmp_eq_u32_e32 vcc, 0, v6
	s_waitcnt lgkmcnt(0)
	s_ashr_i32 s7, s6, 31
	s_add_u32 s3, s12, s0
	s_addc_u32 s12, s13, s1
	s_lshl_b64 s[0:1], s[6:7], 3
	s_add_u32 s0, s3, s0
	s_addc_u32 s1, s12, s1
	s_load_dwordx2 s[6:7], s[0:1], 0x0
	s_load_dwordx2 s[16:17], s[4:5], 0x10
	s_load_dwordx4 s[12:15], s[4:5], 0x38
	v_mov_b32_e32 v7, 0
	s_waitcnt lgkmcnt(0)
	s_lshl_b64 s[0:1], s[6:7], 3
	s_add_u32 s0, s16, s0
	s_addc_u32 s1, s17, s1
	s_load_dwordx4 s[16:19], s[0:1], 0x0
	s_and_saveexec_b64 s[0:1], vcc
	s_cbranch_execz .LBB26_5
; %bb.4:
	s_load_dwordx4 s[20:23], s[4:5], 0x28
	s_waitcnt lgkmcnt(0)
	s_mul_i32 s3, s6, s23
	s_mul_hi_u32 s23, s6, s22
	s_mul_i32 s24, s7, s22
	s_add_i32 s3, s23, s3
	s_add_i32 s23, s3, s24
	s_mul_i32 s22, s6, s22
	s_lshl_b64 s[22:23], s[22:23], 2
	s_add_u32 s20, s20, s22
	s_addc_u32 s21, s21, s23
	s_load_dword s3, s[20:21], 0x0
	s_waitcnt lgkmcnt(0)
	v_mov_b32_e32 v0, s3
	v_mul_f32_e32 v7, s2, v0
.LBB26_5:
	s_or_b64 exec, exec, s[0:1]
	v_subrev_co_u32_e32 v0, vcc, s8, v6
	s_waitcnt lgkmcnt(0)
	s_sub_u32 s20, s18, s8
	v_subb_co_u32_e64 v1, s[2:3], 0, 0, vcc
	v_mov_b32_e32 v2, s17
	v_add_co_u32_e32 v0, vcc, s16, v0
	s_subb_u32 s21, s19, 0
	v_addc_co_u32_e32 v1, vcc, v2, v1, vcc
	s_mov_b32 s0, 0
	v_cmp_gt_i64_e32 vcc, s[20:21], v[0:1]
	s_and_saveexec_b64 s[22:23], vcc
	s_cbranch_execz .LBB26_43
; %bb.6:
	s_load_dwordx2 s[24:25], s[4:5], 0x58
	s_load_dwordx4 s[16:19], s[4:5], 0x18
	s_cmp_eq_u32 s10, 0
	s_cselect_b64 s[26:27], -1, 0
	s_add_u32 s28, s6, s8
	v_cndmask_b32_e64 v2, 0, 1, s[26:27]
	s_mov_b32 s33, s8
	s_addc_u32 s29, s7, 0
	s_lshl_b32 s8, s11, 2
	s_mov_b64 s[30:31], 0
	s_waitcnt lgkmcnt(0)
	v_mov_b32_e32 v8, s17
	v_mov_b32_e32 v9, s0
	;; [unrolled: 1-line block ×4, first 2 shown]
	v_cmp_ne_u32_e64 s[0:1], 1, v2
	s_branch .LBB26_8
.LBB26_7:                               ;   in Loop: Header=BB26_8 Depth=1
	s_or_b64 exec, exec, s[34:35]
	s_and_b64 s[2:3], exec, s[2:3]
	s_or_b64 s[30:31], s[2:3], s[30:31]
	v_mov_b32_e32 v7, v4
	s_andn2_b64 exec, exec, s[30:31]
	s_cbranch_execz .LBB26_42
.LBB26_8:                               ; =>This Loop Header: Depth=1
                                        ;     Child Loop BB26_33 Depth 2
	v_lshlrev_b64 v[2:3], 3, v[0:1]
	v_add_co_u32_e32 v2, vcc, s16, v2
	v_addc_co_u32_e32 v3, vcc, v8, v3, vcc
	global_load_dwordx2 v[2:3], v[2:3], off glc slc
	v_lshlrev_b64 v[4:5], 2, v[0:1]
	v_add_co_u32_e32 v4, vcc, s18, v4
	v_addc_co_u32_e32 v5, vcc, v10, v5, vcc
	global_load_dword v12, v[4:5], off glc slc
	s_waitcnt vmcnt(1)
	v_subrev_co_u32_e32 v2, vcc, s33, v2
	v_subb_co_u32_e32 v3, vcc, v3, v9, vcc
	v_cmp_eq_u64_e32 vcc, s[6:7], v[2:3]
	s_and_b64 s[4:5], s[26:27], vcc
	s_waitcnt vmcnt(0)
	v_cmp_eq_f32_e64 s[2:3], 0, v12
	s_and_b64 s[2:3], s[2:3], s[4:5]
	s_and_saveexec_b64 s[4:5], s[2:3]
	s_cbranch_execz .LBB26_12
; %bb.9:                                ;   in Loop: Header=BB26_8 Depth=1
	v_mbcnt_lo_u32_b32 v4, exec_lo, 0
	v_mbcnt_hi_u32_b32 v4, exec_hi, v4
	v_cmp_eq_u32_e64 s[2:3], 0, v4
	s_and_saveexec_b64 s[34:35], s[2:3]
	s_cbranch_execz .LBB26_11
; %bb.10:                               ;   in Loop: Header=BB26_8 Depth=1
	v_pk_mov_b32 v[4:5], s[28:29], s[28:29] op_sel:[0,1]
	global_atomic_umin_x2 v11, v[4:5], s[24:25]
.LBB26_11:                              ;   in Loop: Header=BB26_8 Depth=1
	s_or_b64 exec, exec, s[34:35]
	v_mov_b32_e32 v12, 1.0
.LBB26_12:                              ;   in Loop: Header=BB26_8 Depth=1
	s_or_b64 exec, exec, s[4:5]
	v_cmp_ne_u64_e64 s[2:3], s[6:7], v[2:3]
	s_cmp_lt_i32 s9, 1
	s_mov_b64 s[34:35], 0
	s_cbranch_scc1 .LBB26_21
; %bb.13:                               ;   in Loop: Header=BB26_8 Depth=1
	s_cmp_eq_u32 s9, 1
	s_cbranch_scc0 .LBB26_22
; %bb.14:                               ;   in Loop: Header=BB26_8 Depth=1
	v_cmp_le_i64_e64 s[4:5], s[6:7], v[2:3]
	s_mov_b64 s[36:37], 0
	s_and_saveexec_b64 s[38:39], s[4:5]
	s_cbranch_execz .LBB26_20
; %bb.15:                               ;   in Loop: Header=BB26_8 Depth=1
	s_mov_b64 s[36:37], -1
	s_and_saveexec_b64 s[4:5], vcc
	s_xor_b64 s[4:5], exec, s[4:5]
	s_cbranch_execz .LBB26_19
; %bb.16:                               ;   in Loop: Header=BB26_8 Depth=1
	s_and_b64 vcc, exec, s[0:1]
	s_cbranch_vccnz .LBB26_18
; %bb.17:                               ;   in Loop: Header=BB26_8 Depth=1
	v_div_scale_f32 v4, s[36:37], v12, v12, 1.0
	v_rcp_f32_e32 v5, v4
	v_div_scale_f32 v13, vcc, 1.0, v12, 1.0
	v_fma_f32 v14, -v4, v5, 1.0
	v_fmac_f32_e32 v5, v14, v5
	v_mul_f32_e32 v14, v13, v5
	v_fma_f32 v15, -v4, v14, v13
	v_fmac_f32_e32 v14, v15, v5
	v_fma_f32 v4, -v4, v14, v13
	v_div_fmas_f32 v4, v4, v5, v14
	v_div_fixup_f32 v4, v4, v12, 1.0
	v_mov_b32_e32 v5, s8
	ds_write_b32 v5, v4
.LBB26_18:                              ;   in Loop: Header=BB26_8 Depth=1
	s_xor_b64 s[36:37], exec, -1
.LBB26_19:                              ;   in Loop: Header=BB26_8 Depth=1
	s_or_b64 exec, exec, s[4:5]
	s_and_b64 s[36:37], s[36:37], exec
.LBB26_20:                              ;   in Loop: Header=BB26_8 Depth=1
	s_or_b64 exec, exec, s[38:39]
	s_mov_b32 s17, 4
	v_mov_b32_e32 v4, v7
	s_branch .LBB26_23
.LBB26_21:                              ;   in Loop: Header=BB26_8 Depth=1
	s_mov_b64 s[36:37], 0
                                        ; implicit-def: $sgpr17
                                        ; implicit-def: $vgpr4
	s_cbranch_execnz .LBB26_24
	s_branch .LBB26_26
.LBB26_22:                              ;   in Loop: Header=BB26_8 Depth=1
	s_mov_b64 s[36:37], -1
                                        ; implicit-def: $sgpr17
                                        ; implicit-def: $vgpr4
.LBB26_23:                              ;   in Loop: Header=BB26_8 Depth=1
	s_branch .LBB26_26
.LBB26_24:                              ;   in Loop: Header=BB26_8 Depth=1
	s_cmp_eq_u32 s9, 0
	s_cbranch_scc1 .LBB26_28
; %bb.25:                               ;   in Loop: Header=BB26_8 Depth=1
	s_mov_b64 s[36:37], -1
                                        ; implicit-def: $sgpr17
                                        ; implicit-def: $vgpr4
.LBB26_26:                              ;   in Loop: Header=BB26_8 Depth=1
	v_mov_b32_e32 v5, s17
	s_and_saveexec_b64 s[2:3], s[36:37]
	s_cbranch_execnz .LBB26_31
.LBB26_27:                              ;   in Loop: Header=BB26_8 Depth=1
	s_or_b64 exec, exec, s[2:3]
	s_and_saveexec_b64 s[2:3], s[34:35]
	s_cbranch_execnz .LBB26_35
	s_branch .LBB26_38
.LBB26_28:                              ;   in Loop: Header=BB26_8 Depth=1
	v_cmp_ge_i64_e32 vcc, s[6:7], v[2:3]
	s_mov_b64 s[36:37], 0
	s_and_saveexec_b64 s[4:5], vcc
; %bb.29:                               ;   in Loop: Header=BB26_8 Depth=1
	s_mov_b64 s[34:35], exec
	s_and_b64 s[36:37], s[2:3], exec
; %bb.30:                               ;   in Loop: Header=BB26_8 Depth=1
	s_or_b64 exec, exec, s[4:5]
	s_mov_b32 s17, 2
	v_mov_b32_e32 v4, v7
	v_mov_b32_e32 v5, s17
	s_and_saveexec_b64 s[2:3], s[36:37]
	s_cbranch_execz .LBB26_27
.LBB26_31:                              ;   in Loop: Header=BB26_8 Depth=1
	v_lshlrev_b64 v[2:3], 2, v[2:3]
	v_mov_b32_e32 v5, s15
	v_add_co_u32_e32 v4, vcc, s14, v2
	v_addc_co_u32_e32 v5, vcc, v5, v3, vcc
	global_load_dword v13, v[4:5], off glc
	s_waitcnt vmcnt(0)
	v_cmp_eq_u32_e32 vcc, 0, v13
	s_and_saveexec_b64 s[4:5], vcc
	s_cbranch_execz .LBB26_34
; %bb.32:                               ;   in Loop: Header=BB26_8 Depth=1
	s_mov_b64 s[36:37], 0
.LBB26_33:                              ;   Parent Loop BB26_8 Depth=1
                                        ; =>  This Inner Loop Header: Depth=2
	global_load_dword v13, v[4:5], off glc
	s_waitcnt vmcnt(0)
	v_cmp_ne_u32_e32 vcc, 0, v13
	s_or_b64 s[36:37], vcc, s[36:37]
	s_andn2_b64 exec, exec, s[36:37]
	s_cbranch_execnz .LBB26_33
.LBB26_34:                              ;   in Loop: Header=BB26_8 Depth=1
	s_or_b64 exec, exec, s[4:5]
	v_mov_b32_e32 v4, s13
	v_add_co_u32_e32 v2, vcc, s12, v2
	v_addc_co_u32_e32 v3, vcc, v4, v3, vcc
	s_waitcnt lgkmcnt(0)
	buffer_wbinvl1_vol
	global_load_dword v2, v[2:3], off
	v_mov_b32_e32 v5, 0
	s_andn2_b64 s[34:35], s[34:35], exec
	s_waitcnt vmcnt(0)
	v_fma_f32 v4, -v12, v2, v7
	s_or_b64 exec, exec, s[2:3]
	s_and_saveexec_b64 s[2:3], s[34:35]
	s_cbranch_execz .LBB26_38
.LBB26_35:                              ;   in Loop: Header=BB26_8 Depth=1
	s_and_b64 vcc, exec, s[0:1]
	s_cbranch_vccnz .LBB26_37
; %bb.36:                               ;   in Loop: Header=BB26_8 Depth=1
	v_div_scale_f32 v2, s[4:5], v12, v12, 1.0
	v_rcp_f32_e32 v3, v2
	v_div_scale_f32 v4, vcc, 1.0, v12, 1.0
	v_fma_f32 v5, -v2, v3, 1.0
	v_fmac_f32_e32 v3, v5, v3
	v_mul_f32_e32 v5, v4, v3
	v_fma_f32 v13, -v2, v5, v4
	v_fmac_f32_e32 v5, v13, v3
	v_fma_f32 v2, -v2, v5, v4
	v_div_fmas_f32 v2, v2, v3, v5
	v_div_fixup_f32 v2, v2, v12, 1.0
	v_mov_b32_e32 v3, s8
	ds_write_b32 v3, v2
.LBB26_37:                              ;   in Loop: Header=BB26_8 Depth=1
	v_mov_b32_e32 v5, 2
	v_mov_b32_e32 v4, v7
.LBB26_38:                              ;   in Loop: Header=BB26_8 Depth=1
	s_or_b64 exec, exec, s[2:3]
	v_cmp_gt_i32_e32 vcc, 4, v5
	s_mov_b64 s[2:3], -1
	s_mov_b64 s[4:5], -1
	s_and_saveexec_b64 s[34:35], vcc
; %bb.39:                               ;   in Loop: Header=BB26_8 Depth=1
	v_cmp_eq_u32_e32 vcc, 0, v5
	s_orn2_b64 s[4:5], vcc, exec
; %bb.40:                               ;   in Loop: Header=BB26_8 Depth=1
	s_or_b64 exec, exec, s[34:35]
	s_and_saveexec_b64 s[34:35], s[4:5]
	s_cbranch_execz .LBB26_7
; %bb.41:                               ;   in Loop: Header=BB26_8 Depth=1
	v_add_co_u32_e32 v0, vcc, 64, v0
	v_addc_co_u32_e32 v1, vcc, 0, v1, vcc
	v_cmp_le_i64_e32 vcc, s[20:21], v[0:1]
	s_orn2_b64 s[2:3], vcc, exec
	s_branch .LBB26_7
.LBB26_42:
	s_or_b64 exec, exec, s[30:31]
	v_mov_b32_e32 v7, v4
.LBB26_43:
	s_or_b64 exec, exec, s[22:23]
	s_nop 0
	v_mov_b32_dpp v0, v7 row_shr:1 row_mask:0xf bank_mask:0xf
	v_add_f32_e32 v0, v7, v0
	s_cmp_lg_u32 s10, 0
	s_nop 0
	v_mov_b32_dpp v1, v0 row_shr:2 row_mask:0xf bank_mask:0xf
	v_add_f32_e32 v0, v0, v1
	s_nop 1
	v_mov_b32_dpp v1, v0 row_shr:4 row_mask:0xf bank_mask:0xe
	v_add_f32_e32 v0, v0, v1
	;; [unrolled: 3-line block ×3, first 2 shown]
	s_nop 1
	v_mov_b32_dpp v1, v0 row_bcast:15 row_mask:0xa bank_mask:0xf
	v_add_f32_e32 v0, v0, v1
	s_nop 1
	v_mov_b32_dpp v1, v0 row_bcast:31 row_mask:0xc bank_mask:0xf
	v_add_f32_e32 v0, v0, v1
	s_cbranch_scc0 .LBB26_47
; %bb.44:
	v_cmp_eq_u32_e32 vcc, 63, v6
	s_and_saveexec_b64 s[0:1], vcc
	s_cbranch_execz .LBB26_46
.LBB26_45:
	s_lshl_b64 s[0:1], s[6:7], 2
	s_add_u32 s2, s12, s0
	s_addc_u32 s3, s13, s1
	v_mov_b32_e32 v1, 0
	s_add_u32 s0, s14, s0
	s_addc_u32 s1, s15, s1
	global_store_dword v1, v0, s[2:3] glc slc
	v_mov_b32_e32 v0, 1
	s_waitcnt vmcnt(0)
	global_store_dword v1, v0, s[0:1]
.LBB26_46:
	s_endpgm
.LBB26_47:
	s_lshl_b32 s0, s11, 2
	v_mov_b32_e32 v1, s0
	s_waitcnt lgkmcnt(0)
	ds_read_b32 v1, v1
	s_waitcnt lgkmcnt(0)
	v_mul_f32_e32 v0, v0, v1
	v_cmp_eq_u32_e32 vcc, 63, v6
	s_and_saveexec_b64 s[0:1], vcc
	s_cbranch_execnz .LBB26_45
	s_branch .LBB26_46
	.section	.rodata,"a",@progbits
	.p2align	6, 0x0
	.amdhsa_kernel _ZN9rocsparseL12csrsv_kernelILj1024ELj64ELb0EllfEEvT3_NS_24const_host_device_scalarIT4_EEPKT2_PKS1_PKS3_SB_lPS3_PiS9_iPS1_21rocsparse_index_base_20rocsparse_fill_mode_20rocsparse_diag_type_b
		.amdhsa_group_segment_fixed_size 64
		.amdhsa_private_segment_fixed_size 0
		.amdhsa_kernarg_size 112
		.amdhsa_user_sgpr_count 6
		.amdhsa_user_sgpr_private_segment_buffer 1
		.amdhsa_user_sgpr_dispatch_ptr 0
		.amdhsa_user_sgpr_queue_ptr 0
		.amdhsa_user_sgpr_kernarg_segment_ptr 1
		.amdhsa_user_sgpr_dispatch_id 0
		.amdhsa_user_sgpr_flat_scratch_init 0
		.amdhsa_user_sgpr_kernarg_preload_length 0
		.amdhsa_user_sgpr_kernarg_preload_offset 0
		.amdhsa_user_sgpr_private_segment_size 0
		.amdhsa_uses_dynamic_stack 0
		.amdhsa_system_sgpr_private_segment_wavefront_offset 0
		.amdhsa_system_sgpr_workgroup_id_x 1
		.amdhsa_system_sgpr_workgroup_id_y 0
		.amdhsa_system_sgpr_workgroup_id_z 0
		.amdhsa_system_sgpr_workgroup_info 0
		.amdhsa_system_vgpr_workitem_id 0
		.amdhsa_next_free_vgpr 16
		.amdhsa_next_free_sgpr 40
		.amdhsa_accum_offset 16
		.amdhsa_reserve_vcc 1
		.amdhsa_reserve_flat_scratch 0
		.amdhsa_float_round_mode_32 0
		.amdhsa_float_round_mode_16_64 0
		.amdhsa_float_denorm_mode_32 3
		.amdhsa_float_denorm_mode_16_64 3
		.amdhsa_dx10_clamp 1
		.amdhsa_ieee_mode 1
		.amdhsa_fp16_overflow 0
		.amdhsa_tg_split 0
		.amdhsa_exception_fp_ieee_invalid_op 0
		.amdhsa_exception_fp_denorm_src 0
		.amdhsa_exception_fp_ieee_div_zero 0
		.amdhsa_exception_fp_ieee_overflow 0
		.amdhsa_exception_fp_ieee_underflow 0
		.amdhsa_exception_fp_ieee_inexact 0
		.amdhsa_exception_int_div_zero 0
	.end_amdhsa_kernel
	.section	.text._ZN9rocsparseL12csrsv_kernelILj1024ELj64ELb0EllfEEvT3_NS_24const_host_device_scalarIT4_EEPKT2_PKS1_PKS3_SB_lPS3_PiS9_iPS1_21rocsparse_index_base_20rocsparse_fill_mode_20rocsparse_diag_type_b,"axG",@progbits,_ZN9rocsparseL12csrsv_kernelILj1024ELj64ELb0EllfEEvT3_NS_24const_host_device_scalarIT4_EEPKT2_PKS1_PKS3_SB_lPS3_PiS9_iPS1_21rocsparse_index_base_20rocsparse_fill_mode_20rocsparse_diag_type_b,comdat
.Lfunc_end26:
	.size	_ZN9rocsparseL12csrsv_kernelILj1024ELj64ELb0EllfEEvT3_NS_24const_host_device_scalarIT4_EEPKT2_PKS1_PKS3_SB_lPS3_PiS9_iPS1_21rocsparse_index_base_20rocsparse_fill_mode_20rocsparse_diag_type_b, .Lfunc_end26-_ZN9rocsparseL12csrsv_kernelILj1024ELj64ELb0EllfEEvT3_NS_24const_host_device_scalarIT4_EEPKT2_PKS1_PKS3_SB_lPS3_PiS9_iPS1_21rocsparse_index_base_20rocsparse_fill_mode_20rocsparse_diag_type_b
                                        ; -- End function
	.section	.AMDGPU.csdata,"",@progbits
; Kernel info:
; codeLenInByte = 1396
; NumSgprs: 44
; NumVgprs: 16
; NumAgprs: 0
; TotalNumVgprs: 16
; ScratchSize: 0
; MemoryBound: 0
; FloatMode: 240
; IeeeMode: 1
; LDSByteSize: 64 bytes/workgroup (compile time only)
; SGPRBlocks: 5
; VGPRBlocks: 1
; NumSGPRsForWavesPerEU: 44
; NumVGPRsForWavesPerEU: 16
; AccumOffset: 16
; Occupancy: 8
; WaveLimiterHint : 1
; COMPUTE_PGM_RSRC2:SCRATCH_EN: 0
; COMPUTE_PGM_RSRC2:USER_SGPR: 6
; COMPUTE_PGM_RSRC2:TRAP_HANDLER: 0
; COMPUTE_PGM_RSRC2:TGID_X_EN: 1
; COMPUTE_PGM_RSRC2:TGID_Y_EN: 0
; COMPUTE_PGM_RSRC2:TGID_Z_EN: 0
; COMPUTE_PGM_RSRC2:TIDIG_COMP_CNT: 0
; COMPUTE_PGM_RSRC3_GFX90A:ACCUM_OFFSET: 3
; COMPUTE_PGM_RSRC3_GFX90A:TG_SPLIT: 0
	.section	.text._ZN9rocsparseL12csrsv_kernelILj1024ELj64ELb1ElldEEvT3_NS_24const_host_device_scalarIT4_EEPKT2_PKS1_PKS3_SB_lPS3_PiS9_iPS1_21rocsparse_index_base_20rocsparse_fill_mode_20rocsparse_diag_type_b,"axG",@progbits,_ZN9rocsparseL12csrsv_kernelILj1024ELj64ELb1ElldEEvT3_NS_24const_host_device_scalarIT4_EEPKT2_PKS1_PKS3_SB_lPS3_PiS9_iPS1_21rocsparse_index_base_20rocsparse_fill_mode_20rocsparse_diag_type_b,comdat
	.globl	_ZN9rocsparseL12csrsv_kernelILj1024ELj64ELb1ElldEEvT3_NS_24const_host_device_scalarIT4_EEPKT2_PKS1_PKS3_SB_lPS3_PiS9_iPS1_21rocsparse_index_base_20rocsparse_fill_mode_20rocsparse_diag_type_b ; -- Begin function _ZN9rocsparseL12csrsv_kernelILj1024ELj64ELb1ElldEEvT3_NS_24const_host_device_scalarIT4_EEPKT2_PKS1_PKS3_SB_lPS3_PiS9_iPS1_21rocsparse_index_base_20rocsparse_fill_mode_20rocsparse_diag_type_b
	.p2align	8
	.type	_ZN9rocsparseL12csrsv_kernelILj1024ELj64ELb1ElldEEvT3_NS_24const_host_device_scalarIT4_EEPKT2_PKS1_PKS3_SB_lPS3_PiS9_iPS1_21rocsparse_index_base_20rocsparse_fill_mode_20rocsparse_diag_type_b,@function
_ZN9rocsparseL12csrsv_kernelILj1024ELj64ELb1ElldEEvT3_NS_24const_host_device_scalarIT4_EEPKT2_PKS1_PKS3_SB_lPS3_PiS9_iPS1_21rocsparse_index_base_20rocsparse_fill_mode_20rocsparse_diag_type_b: ; @_ZN9rocsparseL12csrsv_kernelILj1024ELj64ELb1ElldEEvT3_NS_24const_host_device_scalarIT4_EEPKT2_PKS1_PKS3_SB_lPS3_PiS9_iPS1_21rocsparse_index_base_20rocsparse_fill_mode_20rocsparse_diag_type_b
; %bb.0:
	s_load_dwordx4 s[8:11], s[4:5], 0x60
	s_load_dwordx4 s[0:3], s[4:5], 0x0
	s_waitcnt lgkmcnt(0)
	s_bitcmp1_b32 s11, 0
	s_cselect_b64 s[12:13], -1, 0
	s_and_b64 vcc, exec, s[12:13]
	v_pk_mov_b32 v[4:5], s[2:3], s[2:3] op_sel:[0,1]
	s_cbranch_vccnz .LBB27_2
; %bb.1:
	v_pk_mov_b32 v[2:3], s[2:3], s[2:3] op_sel:[0,1]
	flat_load_dwordx2 v[4:5], v[2:3]
.LBB27_2:
	v_lshrrev_b32_e32 v1, 6, v0
	v_mov_b32_e32 v2, s0
	v_readfirstlane_b32 s11, v1
	s_lshl_b32 s0, s6, 4
	v_mov_b32_e32 v3, s1
	s_add_i32 s0, s11, s0
	s_mov_b32 s1, 0
	v_cmp_ge_i64_e32 vcc, s[0:1], v[2:3]
	s_cbranch_vccnz .LBB27_48
; %bb.3:
	s_load_dword s2, s[4:5], 0x50
	s_load_dwordx2 s[6:7], s[4:5], 0x48
	s_lshl_b64 s[0:1], s[0:1], 3
	v_and_b32_e32 v10, 63, v0
	v_cmp_eq_u32_e32 vcc, 0, v10
	s_waitcnt lgkmcnt(0)
	s_ashr_i32 s3, s2, 31
	s_add_u32 s6, s6, s0
	s_addc_u32 s7, s7, s1
	s_lshl_b64 s[0:1], s[2:3], 3
	s_add_u32 s0, s6, s0
	s_addc_u32 s1, s7, s1
	s_load_dwordx2 s[6:7], s[0:1], 0x0
	s_load_dwordx2 s[2:3], s[4:5], 0x10
	s_load_dwordx4 s[12:15], s[4:5], 0x38
	v_pk_mov_b32 v[2:3], 0, 0
	s_waitcnt lgkmcnt(0)
	s_lshl_b64 s[20:21], s[6:7], 3
	s_add_u32 s0, s2, s20
	s_addc_u32 s1, s3, s21
	s_load_dwordx4 s[0:3], s[0:1], 0x0
	s_and_saveexec_b64 s[16:17], vcc
	s_cbranch_execz .LBB27_5
; %bb.4:
	s_load_dwordx4 s[24:27], s[4:5], 0x28
	s_waitcnt lgkmcnt(0)
	s_mul_i32 s18, s6, s27
	s_mul_hi_u32 s19, s6, s26
	s_mul_i32 s22, s7, s26
	s_add_i32 s18, s19, s18
	s_add_i32 s19, s18, s22
	s_mul_i32 s18, s6, s26
	s_lshl_b64 s[18:19], s[18:19], 3
	s_add_u32 s18, s24, s18
	s_addc_u32 s19, s25, s19
	s_load_dwordx2 s[18:19], s[18:19], 0x0
	s_waitcnt vmcnt(0) lgkmcnt(0)
	v_mul_f64 v[2:3], v[4:5], s[18:19]
.LBB27_5:
	s_or_b64 exec, exec, s[16:17]
	s_waitcnt lgkmcnt(0)
	s_sub_u32 s22, s2, s8
	v_subrev_co_u32_e32 v0, vcc, s8, v10
	s_subb_u32 s23, s3, 0
	v_subb_co_u32_e64 v1, s[2:3], 0, 0, vcc
	s_waitcnt vmcnt(0)
	v_mov_b32_e32 v4, s1
	v_add_co_u32_e32 v0, vcc, s0, v0
	v_addc_co_u32_e32 v1, vcc, v4, v1, vcc
	s_mov_b32 s36, 0
	v_cmp_gt_i64_e32 vcc, s[22:23], v[0:1]
	s_and_saveexec_b64 s[24:25], vcc
	s_cbranch_execz .LBB27_45
; %bb.6:
	s_load_dwordx2 s[26:27], s[4:5], 0x58
	s_load_dwordx4 s[16:19], s[4:5], 0x18
	s_cmp_eq_u32 s10, 0
	s_cselect_b64 s[28:29], -1, 0
	s_add_u32 s30, s6, s8
	v_cndmask_b32_e64 v4, 0, 1, s[28:29]
	s_mov_b32 s33, s8
	s_addc_u32 s31, s7, 0
	s_lshl_b32 s8, s11, 3
	s_mov_b64 s[34:35], 0
	s_waitcnt lgkmcnt(0)
	v_mov_b32_e32 v11, s17
	v_mov_b32_e32 v12, s36
	;; [unrolled: 1-line block ×4, first 2 shown]
	v_cmp_ne_u32_e64 s[0:1], 1, v4
	s_branch .LBB27_8
.LBB27_7:                               ;   in Loop: Header=BB27_8 Depth=1
	s_or_b64 exec, exec, s[36:37]
	s_and_b64 s[2:3], exec, s[2:3]
	s_or_b64 s[34:35], s[2:3], s[34:35]
	v_pk_mov_b32 v[2:3], v[8:9], v[8:9] op_sel:[0,1]
	s_andn2_b64 exec, exec, s[34:35]
	s_cbranch_execz .LBB27_44
.LBB27_8:                               ; =>This Loop Header: Depth=1
                                        ;     Child Loop BB27_34 Depth 2
                                        ;       Child Loop BB27_35 Depth 3
	v_lshlrev_b64 v[4:5], 3, v[0:1]
	v_add_co_u32_e32 v6, vcc, s16, v4
	v_addc_co_u32_e32 v7, vcc, v11, v5, vcc
	global_load_dwordx2 v[6:7], v[6:7], off glc slc
	v_add_co_u32_e32 v4, vcc, s18, v4
	v_addc_co_u32_e32 v5, vcc, v13, v5, vcc
	global_load_dwordx2 v[4:5], v[4:5], off glc slc
	s_waitcnt vmcnt(1)
	v_subrev_co_u32_e32 v6, vcc, s33, v6
	v_subb_co_u32_e32 v7, vcc, v7, v12, vcc
	v_cmp_eq_u64_e32 vcc, s[6:7], v[6:7]
	s_waitcnt vmcnt(0)
	v_cmp_eq_f64_e64 s[2:3], 0, v[4:5]
	s_and_b64 s[4:5], s[28:29], vcc
	s_and_b64 s[2:3], s[2:3], s[4:5]
	s_and_saveexec_b64 s[4:5], s[2:3]
	s_cbranch_execz .LBB27_12
; %bb.9:                                ;   in Loop: Header=BB27_8 Depth=1
	v_mbcnt_lo_u32_b32 v4, exec_lo, 0
	v_mbcnt_hi_u32_b32 v4, exec_hi, v4
	v_cmp_eq_u32_e64 s[2:3], 0, v4
	s_and_saveexec_b64 s[36:37], s[2:3]
	s_cbranch_execz .LBB27_11
; %bb.10:                               ;   in Loop: Header=BB27_8 Depth=1
	v_pk_mov_b32 v[4:5], s[30:31], s[30:31] op_sel:[0,1]
	global_atomic_umin_x2 v14, v[4:5], s[26:27]
.LBB27_11:                              ;   in Loop: Header=BB27_8 Depth=1
	s_or_b64 exec, exec, s[36:37]
	v_mov_b32_e32 v4, 0
	v_mov_b32_e32 v5, 0x3ff00000
.LBB27_12:                              ;   in Loop: Header=BB27_8 Depth=1
	s_or_b64 exec, exec, s[4:5]
	v_cmp_ne_u64_e64 s[2:3], s[6:7], v[6:7]
	s_cmp_lt_i32 s9, 1
	s_mov_b64 s[36:37], 0
	s_cbranch_scc1 .LBB27_21
; %bb.13:                               ;   in Loop: Header=BB27_8 Depth=1
	s_cmp_eq_u32 s9, 1
	s_cbranch_scc0 .LBB27_22
; %bb.14:                               ;   in Loop: Header=BB27_8 Depth=1
	v_cmp_le_i64_e64 s[4:5], s[6:7], v[6:7]
	s_mov_b64 s[38:39], 0
	s_and_saveexec_b64 s[40:41], s[4:5]
	s_cbranch_execz .LBB27_20
; %bb.15:                               ;   in Loop: Header=BB27_8 Depth=1
	s_mov_b64 s[38:39], -1
	s_and_saveexec_b64 s[4:5], vcc
	s_xor_b64 s[4:5], exec, s[4:5]
	s_cbranch_execz .LBB27_19
; %bb.16:                               ;   in Loop: Header=BB27_8 Depth=1
	s_and_b64 vcc, exec, s[0:1]
	s_cbranch_vccnz .LBB27_18
; %bb.17:                               ;   in Loop: Header=BB27_8 Depth=1
	v_div_scale_f64 v[8:9], s[38:39], v[4:5], v[4:5], 1.0
	v_rcp_f64_e32 v[16:17], v[8:9]
	v_div_scale_f64 v[18:19], vcc, 1.0, v[4:5], 1.0
	v_mov_b32_e32 v15, s8
	v_fma_f64 v[20:21], -v[8:9], v[16:17], 1.0
	v_fmac_f64_e32 v[16:17], v[16:17], v[20:21]
	v_fma_f64 v[20:21], -v[8:9], v[16:17], 1.0
	v_fmac_f64_e32 v[16:17], v[16:17], v[20:21]
	v_mul_f64 v[20:21], v[18:19], v[16:17]
	v_fma_f64 v[8:9], -v[8:9], v[20:21], v[18:19]
	v_div_fmas_f64 v[8:9], v[8:9], v[16:17], v[20:21]
	v_div_fixup_f64 v[8:9], v[8:9], v[4:5], 1.0
	ds_write_b64 v15, v[8:9]
.LBB27_18:                              ;   in Loop: Header=BB27_8 Depth=1
	s_xor_b64 s[38:39], exec, -1
.LBB27_19:                              ;   in Loop: Header=BB27_8 Depth=1
	s_or_b64 exec, exec, s[4:5]
	s_and_b64 s[38:39], s[38:39], exec
.LBB27_20:                              ;   in Loop: Header=BB27_8 Depth=1
	s_or_b64 exec, exec, s[40:41]
	s_mov_b32 s17, 4
	v_pk_mov_b32 v[8:9], v[2:3], v[2:3] op_sel:[0,1]
	s_branch .LBB27_23
.LBB27_21:                              ;   in Loop: Header=BB27_8 Depth=1
	s_mov_b64 s[38:39], 0
                                        ; implicit-def: $sgpr17
                                        ; implicit-def: $vgpr8_vgpr9
	s_cbranch_execnz .LBB27_24
	s_branch .LBB27_26
.LBB27_22:                              ;   in Loop: Header=BB27_8 Depth=1
	s_mov_b64 s[38:39], -1
                                        ; implicit-def: $sgpr17
                                        ; implicit-def: $vgpr8_vgpr9
.LBB27_23:                              ;   in Loop: Header=BB27_8 Depth=1
	s_branch .LBB27_26
.LBB27_24:                              ;   in Loop: Header=BB27_8 Depth=1
	s_cmp_eq_u32 s9, 0
	s_cbranch_scc1 .LBB27_28
; %bb.25:                               ;   in Loop: Header=BB27_8 Depth=1
	s_mov_b64 s[38:39], -1
                                        ; implicit-def: $sgpr17
                                        ; implicit-def: $vgpr8_vgpr9
.LBB27_26:                              ;   in Loop: Header=BB27_8 Depth=1
	v_mov_b32_e32 v15, s17
	s_and_saveexec_b64 s[2:3], s[38:39]
	s_cbranch_execnz .LBB27_31
.LBB27_27:                              ;   in Loop: Header=BB27_8 Depth=1
	s_or_b64 exec, exec, s[2:3]
	s_and_saveexec_b64 s[2:3], s[36:37]
	s_cbranch_execnz .LBB27_37
	s_branch .LBB27_40
.LBB27_28:                              ;   in Loop: Header=BB27_8 Depth=1
	v_cmp_ge_i64_e32 vcc, s[6:7], v[6:7]
	s_mov_b64 s[38:39], 0
	s_and_saveexec_b64 s[4:5], vcc
; %bb.29:                               ;   in Loop: Header=BB27_8 Depth=1
	s_mov_b64 s[36:37], exec
	s_and_b64 s[38:39], s[2:3], exec
; %bb.30:                               ;   in Loop: Header=BB27_8 Depth=1
	s_or_b64 exec, exec, s[4:5]
	s_mov_b32 s17, 2
	v_pk_mov_b32 v[8:9], v[2:3], v[2:3] op_sel:[0,1]
	v_mov_b32_e32 v15, s17
	s_and_saveexec_b64 s[2:3], s[38:39]
	s_cbranch_execz .LBB27_27
.LBB27_31:                              ;   in Loop: Header=BB27_8 Depth=1
	v_lshlrev_b64 v[8:9], 2, v[6:7]
	v_mov_b32_e32 v15, s15
	v_add_co_u32_e32 v8, vcc, s14, v8
	v_addc_co_u32_e32 v9, vcc, v15, v9, vcc
	global_load_dword v15, v[8:9], off glc
	s_waitcnt vmcnt(0)
	v_cmp_eq_u32_e32 vcc, 0, v15
	s_and_saveexec_b64 s[4:5], vcc
	s_cbranch_execz .LBB27_36
; %bb.32:                               ;   in Loop: Header=BB27_8 Depth=1
	s_mov_b32 s17, 0
	s_mov_b64 s[38:39], 0
	s_branch .LBB27_34
.LBB27_33:                              ;   in Loop: Header=BB27_34 Depth=2
	global_load_dword v15, v[8:9], off glc
	s_cmpk_lt_u32 s17, 0xf43
	s_cselect_b64 s[40:41], -1, 0
	s_cmp_lg_u64 s[40:41], 0
	s_addc_u32 s17, s17, 0
	s_waitcnt vmcnt(0)
	v_cmp_ne_u32_e32 vcc, 0, v15
	s_or_b64 s[38:39], vcc, s[38:39]
	s_andn2_b64 exec, exec, s[38:39]
	s_cbranch_execz .LBB27_36
.LBB27_34:                              ;   Parent Loop BB27_8 Depth=1
                                        ; =>  This Loop Header: Depth=2
                                        ;       Child Loop BB27_35 Depth 3
	s_cmp_eq_u32 s17, 0
	s_mov_b32 s19, s17
	s_cbranch_scc1 .LBB27_33
.LBB27_35:                              ;   Parent Loop BB27_8 Depth=1
                                        ;     Parent Loop BB27_34 Depth=2
                                        ; =>    This Inner Loop Header: Depth=3
	s_add_i32 s19, s19, -1
	s_cmp_eq_u32 s19, 0
	s_sleep 1
	s_cbranch_scc0 .LBB27_35
	s_branch .LBB27_33
.LBB27_36:                              ;   in Loop: Header=BB27_8 Depth=1
	s_or_b64 exec, exec, s[4:5]
	v_lshlrev_b64 v[6:7], 3, v[6:7]
	v_mov_b32_e32 v8, s13
	v_add_co_u32_e32 v6, vcc, s12, v6
	v_addc_co_u32_e32 v7, vcc, v8, v7, vcc
	s_waitcnt lgkmcnt(0)
	buffer_wbinvl1_vol
	global_load_dwordx2 v[6:7], v[6:7], off
	v_mov_b32_e32 v15, 0
	s_andn2_b64 s[36:37], s[36:37], exec
	s_waitcnt vmcnt(0)
	v_fma_f64 v[8:9], -v[4:5], v[6:7], v[2:3]
	s_or_b64 exec, exec, s[2:3]
	s_and_saveexec_b64 s[2:3], s[36:37]
	s_cbranch_execz .LBB27_40
.LBB27_37:                              ;   in Loop: Header=BB27_8 Depth=1
	s_and_b64 vcc, exec, s[0:1]
	s_cbranch_vccnz .LBB27_39
; %bb.38:                               ;   in Loop: Header=BB27_8 Depth=1
	v_div_scale_f64 v[6:7], s[4:5], v[4:5], v[4:5], 1.0
	v_rcp_f64_e32 v[8:9], v[6:7]
	v_div_scale_f64 v[16:17], vcc, 1.0, v[4:5], 1.0
	v_fma_f64 v[18:19], -v[6:7], v[8:9], 1.0
	v_fmac_f64_e32 v[8:9], v[8:9], v[18:19]
	v_fma_f64 v[18:19], -v[6:7], v[8:9], 1.0
	v_fmac_f64_e32 v[8:9], v[8:9], v[18:19]
	v_mul_f64 v[18:19], v[16:17], v[8:9]
	v_fma_f64 v[6:7], -v[6:7], v[18:19], v[16:17]
	v_div_fmas_f64 v[6:7], v[6:7], v[8:9], v[18:19]
	v_div_fixup_f64 v[4:5], v[6:7], v[4:5], 1.0
	v_mov_b32_e32 v6, s8
	ds_write_b64 v6, v[4:5]
.LBB27_39:                              ;   in Loop: Header=BB27_8 Depth=1
	v_mov_b32_e32 v15, 2
	v_pk_mov_b32 v[8:9], v[2:3], v[2:3] op_sel:[0,1]
.LBB27_40:                              ;   in Loop: Header=BB27_8 Depth=1
	s_or_b64 exec, exec, s[2:3]
	v_cmp_gt_i32_e32 vcc, 4, v15
	s_mov_b64 s[2:3], -1
	s_mov_b64 s[4:5], -1
	s_and_saveexec_b64 s[36:37], vcc
; %bb.41:                               ;   in Loop: Header=BB27_8 Depth=1
	v_cmp_eq_u32_e32 vcc, 0, v15
	s_orn2_b64 s[4:5], vcc, exec
; %bb.42:                               ;   in Loop: Header=BB27_8 Depth=1
	s_or_b64 exec, exec, s[36:37]
	s_and_saveexec_b64 s[36:37], s[4:5]
	s_cbranch_execz .LBB27_7
; %bb.43:                               ;   in Loop: Header=BB27_8 Depth=1
	v_add_co_u32_e32 v0, vcc, 64, v0
	v_addc_co_u32_e32 v1, vcc, 0, v1, vcc
	v_cmp_le_i64_e32 vcc, s[22:23], v[0:1]
	s_orn2_b64 s[2:3], vcc, exec
	s_branch .LBB27_7
.LBB27_44:
	s_or_b64 exec, exec, s[34:35]
	v_pk_mov_b32 v[2:3], v[8:9], v[8:9] op_sel:[0,1]
.LBB27_45:
	s_or_b64 exec, exec, s[24:25]
	s_nop 0
	v_mov_b32_dpp v0, v2 row_shr:1 row_mask:0xf bank_mask:0xf
	v_mov_b32_dpp v1, v3 row_shr:1 row_mask:0xf bank_mask:0xf
	v_add_f64 v[0:1], v[2:3], v[0:1]
	s_cmp_lg_u32 s10, 0
	s_nop 0
	v_mov_b32_dpp v2, v0 row_shr:2 row_mask:0xf bank_mask:0xf
	v_mov_b32_dpp v3, v1 row_shr:2 row_mask:0xf bank_mask:0xf
	v_add_f64 v[0:1], v[0:1], v[2:3]
	s_nop 1
	v_mov_b32_dpp v2, v0 row_shr:4 row_mask:0xf bank_mask:0xe
	v_mov_b32_dpp v3, v1 row_shr:4 row_mask:0xf bank_mask:0xe
	v_add_f64 v[0:1], v[0:1], v[2:3]
	;; [unrolled: 4-line block ×3, first 2 shown]
	s_nop 1
	v_mov_b32_dpp v2, v0 row_bcast:15 row_mask:0xa bank_mask:0xf
	v_mov_b32_dpp v3, v1 row_bcast:15 row_mask:0xa bank_mask:0xf
	v_add_f64 v[0:1], v[0:1], v[2:3]
	s_nop 1
	v_mov_b32_dpp v2, v0 row_bcast:31 row_mask:0xc bank_mask:0xf
	v_mov_b32_dpp v3, v1 row_bcast:31 row_mask:0xc bank_mask:0xf
	v_add_f64 v[0:1], v[0:1], v[2:3]
	s_cbranch_scc0 .LBB27_49
; %bb.46:
	v_cmp_eq_u32_e32 vcc, 63, v10
	s_and_saveexec_b64 s[0:1], vcc
	s_cbranch_execz .LBB27_48
.LBB27_47:
	s_add_u32 s0, s12, s20
	s_addc_u32 s1, s13, s21
	s_lshl_b64 s[2:3], s[6:7], 2
	v_mov_b32_e32 v2, 0
	s_add_u32 s2, s14, s2
	s_addc_u32 s3, s15, s3
	global_store_dwordx2 v2, v[0:1], s[0:1] glc slc
	v_mov_b32_e32 v0, 1
	s_waitcnt vmcnt(0)
	global_store_dword v2, v0, s[2:3]
.LBB27_48:
	s_endpgm
.LBB27_49:
	s_lshl_b32 s0, s11, 3
	v_mov_b32_e32 v2, s0
	s_waitcnt lgkmcnt(0)
	ds_read_b64 v[2:3], v2
	s_waitcnt lgkmcnt(0)
	v_mul_f64 v[0:1], v[0:1], v[2:3]
	v_cmp_eq_u32_e32 vcc, 63, v10
	s_and_saveexec_b64 s[0:1], vcc
	s_cbranch_execnz .LBB27_47
	s_branch .LBB27_48
	.section	.rodata,"a",@progbits
	.p2align	6, 0x0
	.amdhsa_kernel _ZN9rocsparseL12csrsv_kernelILj1024ELj64ELb1ElldEEvT3_NS_24const_host_device_scalarIT4_EEPKT2_PKS1_PKS3_SB_lPS3_PiS9_iPS1_21rocsparse_index_base_20rocsparse_fill_mode_20rocsparse_diag_type_b
		.amdhsa_group_segment_fixed_size 128
		.amdhsa_private_segment_fixed_size 0
		.amdhsa_kernarg_size 112
		.amdhsa_user_sgpr_count 6
		.amdhsa_user_sgpr_private_segment_buffer 1
		.amdhsa_user_sgpr_dispatch_ptr 0
		.amdhsa_user_sgpr_queue_ptr 0
		.amdhsa_user_sgpr_kernarg_segment_ptr 1
		.amdhsa_user_sgpr_dispatch_id 0
		.amdhsa_user_sgpr_flat_scratch_init 0
		.amdhsa_user_sgpr_kernarg_preload_length 0
		.amdhsa_user_sgpr_kernarg_preload_offset 0
		.amdhsa_user_sgpr_private_segment_size 0
		.amdhsa_uses_dynamic_stack 0
		.amdhsa_system_sgpr_private_segment_wavefront_offset 0
		.amdhsa_system_sgpr_workgroup_id_x 1
		.amdhsa_system_sgpr_workgroup_id_y 0
		.amdhsa_system_sgpr_workgroup_id_z 0
		.amdhsa_system_sgpr_workgroup_info 0
		.amdhsa_system_vgpr_workitem_id 0
		.amdhsa_next_free_vgpr 22
		.amdhsa_next_free_sgpr 42
		.amdhsa_accum_offset 24
		.amdhsa_reserve_vcc 1
		.amdhsa_reserve_flat_scratch 0
		.amdhsa_float_round_mode_32 0
		.amdhsa_float_round_mode_16_64 0
		.amdhsa_float_denorm_mode_32 3
		.amdhsa_float_denorm_mode_16_64 3
		.amdhsa_dx10_clamp 1
		.amdhsa_ieee_mode 1
		.amdhsa_fp16_overflow 0
		.amdhsa_tg_split 0
		.amdhsa_exception_fp_ieee_invalid_op 0
		.amdhsa_exception_fp_denorm_src 0
		.amdhsa_exception_fp_ieee_div_zero 0
		.amdhsa_exception_fp_ieee_overflow 0
		.amdhsa_exception_fp_ieee_underflow 0
		.amdhsa_exception_fp_ieee_inexact 0
		.amdhsa_exception_int_div_zero 0
	.end_amdhsa_kernel
	.section	.text._ZN9rocsparseL12csrsv_kernelILj1024ELj64ELb1ElldEEvT3_NS_24const_host_device_scalarIT4_EEPKT2_PKS1_PKS3_SB_lPS3_PiS9_iPS1_21rocsparse_index_base_20rocsparse_fill_mode_20rocsparse_diag_type_b,"axG",@progbits,_ZN9rocsparseL12csrsv_kernelILj1024ELj64ELb1ElldEEvT3_NS_24const_host_device_scalarIT4_EEPKT2_PKS1_PKS3_SB_lPS3_PiS9_iPS1_21rocsparse_index_base_20rocsparse_fill_mode_20rocsparse_diag_type_b,comdat
.Lfunc_end27:
	.size	_ZN9rocsparseL12csrsv_kernelILj1024ELj64ELb1ElldEEvT3_NS_24const_host_device_scalarIT4_EEPKT2_PKS1_PKS3_SB_lPS3_PiS9_iPS1_21rocsparse_index_base_20rocsparse_fill_mode_20rocsparse_diag_type_b, .Lfunc_end27-_ZN9rocsparseL12csrsv_kernelILj1024ELj64ELb1ElldEEvT3_NS_24const_host_device_scalarIT4_EEPKT2_PKS1_PKS3_SB_lPS3_PiS9_iPS1_21rocsparse_index_base_20rocsparse_fill_mode_20rocsparse_diag_type_b
                                        ; -- End function
	.section	.AMDGPU.csdata,"",@progbits
; Kernel info:
; codeLenInByte = 1588
; NumSgprs: 46
; NumVgprs: 22
; NumAgprs: 0
; TotalNumVgprs: 22
; ScratchSize: 0
; MemoryBound: 0
; FloatMode: 240
; IeeeMode: 1
; LDSByteSize: 128 bytes/workgroup (compile time only)
; SGPRBlocks: 5
; VGPRBlocks: 2
; NumSGPRsForWavesPerEU: 46
; NumVGPRsForWavesPerEU: 22
; AccumOffset: 24
; Occupancy: 8
; WaveLimiterHint : 1
; COMPUTE_PGM_RSRC2:SCRATCH_EN: 0
; COMPUTE_PGM_RSRC2:USER_SGPR: 6
; COMPUTE_PGM_RSRC2:TRAP_HANDLER: 0
; COMPUTE_PGM_RSRC2:TGID_X_EN: 1
; COMPUTE_PGM_RSRC2:TGID_Y_EN: 0
; COMPUTE_PGM_RSRC2:TGID_Z_EN: 0
; COMPUTE_PGM_RSRC2:TIDIG_COMP_CNT: 0
; COMPUTE_PGM_RSRC3_GFX90A:ACCUM_OFFSET: 5
; COMPUTE_PGM_RSRC3_GFX90A:TG_SPLIT: 0
	.section	.text._ZN9rocsparseL12csrsv_kernelILj1024ELj32ELb0ElldEEvT3_NS_24const_host_device_scalarIT4_EEPKT2_PKS1_PKS3_SB_lPS3_PiS9_iPS1_21rocsparse_index_base_20rocsparse_fill_mode_20rocsparse_diag_type_b,"axG",@progbits,_ZN9rocsparseL12csrsv_kernelILj1024ELj32ELb0ElldEEvT3_NS_24const_host_device_scalarIT4_EEPKT2_PKS1_PKS3_SB_lPS3_PiS9_iPS1_21rocsparse_index_base_20rocsparse_fill_mode_20rocsparse_diag_type_b,comdat
	.globl	_ZN9rocsparseL12csrsv_kernelILj1024ELj32ELb0ElldEEvT3_NS_24const_host_device_scalarIT4_EEPKT2_PKS1_PKS3_SB_lPS3_PiS9_iPS1_21rocsparse_index_base_20rocsparse_fill_mode_20rocsparse_diag_type_b ; -- Begin function _ZN9rocsparseL12csrsv_kernelILj1024ELj32ELb0ElldEEvT3_NS_24const_host_device_scalarIT4_EEPKT2_PKS1_PKS3_SB_lPS3_PiS9_iPS1_21rocsparse_index_base_20rocsparse_fill_mode_20rocsparse_diag_type_b
	.p2align	8
	.type	_ZN9rocsparseL12csrsv_kernelILj1024ELj32ELb0ElldEEvT3_NS_24const_host_device_scalarIT4_EEPKT2_PKS1_PKS3_SB_lPS3_PiS9_iPS1_21rocsparse_index_base_20rocsparse_fill_mode_20rocsparse_diag_type_b,@function
_ZN9rocsparseL12csrsv_kernelILj1024ELj32ELb0ElldEEvT3_NS_24const_host_device_scalarIT4_EEPKT2_PKS1_PKS3_SB_lPS3_PiS9_iPS1_21rocsparse_index_base_20rocsparse_fill_mode_20rocsparse_diag_type_b: ; @_ZN9rocsparseL12csrsv_kernelILj1024ELj32ELb0ElldEEvT3_NS_24const_host_device_scalarIT4_EEPKT2_PKS1_PKS3_SB_lPS3_PiS9_iPS1_21rocsparse_index_base_20rocsparse_fill_mode_20rocsparse_diag_type_b
; %bb.0:
	s_load_dwordx4 s[8:11], s[4:5], 0x60
	s_load_dwordx4 s[0:3], s[4:5], 0x0
	s_waitcnt lgkmcnt(0)
	s_bitcmp1_b32 s11, 0
	s_cselect_b64 s[12:13], -1, 0
	s_and_b64 vcc, exec, s[12:13]
	v_pk_mov_b32 v[4:5], s[2:3], s[2:3] op_sel:[0,1]
	s_cbranch_vccnz .LBB28_2
; %bb.1:
	v_pk_mov_b32 v[2:3], s[2:3], s[2:3] op_sel:[0,1]
	flat_load_dwordx2 v[4:5], v[2:3]
.LBB28_2:
	v_lshrrev_b32_e32 v1, 5, v0
	v_mov_b32_e32 v2, s0
	v_readfirstlane_b32 s11, v1
	s_lshl_b32 s0, s6, 5
	v_mov_b32_e32 v3, s1
	s_add_i32 s0, s11, s0
	s_mov_b32 s1, 0
	v_cmp_ge_i64_e32 vcc, s[0:1], v[2:3]
	s_cbranch_vccnz .LBB28_46
; %bb.3:
	s_load_dword s2, s[4:5], 0x50
	s_load_dwordx2 s[6:7], s[4:5], 0x48
	s_lshl_b64 s[0:1], s[0:1], 3
	v_and_b32_e32 v10, 31, v0
	v_cmp_eq_u32_e32 vcc, 0, v10
	s_waitcnt lgkmcnt(0)
	s_ashr_i32 s3, s2, 31
	s_add_u32 s6, s6, s0
	s_addc_u32 s7, s7, s1
	s_lshl_b64 s[0:1], s[2:3], 3
	s_add_u32 s0, s6, s0
	s_addc_u32 s1, s7, s1
	s_load_dwordx2 s[6:7], s[0:1], 0x0
	s_load_dwordx2 s[2:3], s[4:5], 0x10
	s_load_dwordx4 s[12:15], s[4:5], 0x38
	v_pk_mov_b32 v[2:3], 0, 0
	s_waitcnt lgkmcnt(0)
	s_lshl_b64 s[20:21], s[6:7], 3
	s_add_u32 s0, s2, s20
	s_addc_u32 s1, s3, s21
	s_load_dwordx4 s[0:3], s[0:1], 0x0
	s_and_saveexec_b64 s[16:17], vcc
	s_cbranch_execz .LBB28_5
; %bb.4:
	s_load_dwordx4 s[24:27], s[4:5], 0x28
	s_waitcnt lgkmcnt(0)
	s_mul_i32 s18, s6, s27
	s_mul_hi_u32 s19, s6, s26
	s_mul_i32 s22, s7, s26
	s_add_i32 s18, s19, s18
	s_add_i32 s19, s18, s22
	s_mul_i32 s18, s6, s26
	s_lshl_b64 s[18:19], s[18:19], 3
	s_add_u32 s18, s24, s18
	s_addc_u32 s19, s25, s19
	s_load_dwordx2 s[18:19], s[18:19], 0x0
	s_waitcnt vmcnt(0) lgkmcnt(0)
	v_mul_f64 v[2:3], v[4:5], s[18:19]
.LBB28_5:
	s_or_b64 exec, exec, s[16:17]
	s_waitcnt lgkmcnt(0)
	s_sub_u32 s22, s2, s8
	v_subrev_co_u32_e32 v0, vcc, s8, v10
	s_subb_u32 s23, s3, 0
	v_subb_co_u32_e64 v1, s[2:3], 0, 0, vcc
	s_waitcnt vmcnt(0)
	v_mov_b32_e32 v4, s1
	v_add_co_u32_e32 v0, vcc, s0, v0
	v_addc_co_u32_e32 v1, vcc, v4, v1, vcc
	s_mov_b32 s36, 0
	v_cmp_gt_i64_e32 vcc, s[22:23], v[0:1]
	s_and_saveexec_b64 s[24:25], vcc
	s_cbranch_execz .LBB28_43
; %bb.6:
	s_load_dwordx2 s[26:27], s[4:5], 0x58
	s_load_dwordx4 s[16:19], s[4:5], 0x18
	s_cmp_eq_u32 s10, 0
	s_cselect_b64 s[28:29], -1, 0
	s_add_u32 s30, s6, s8
	v_cndmask_b32_e64 v4, 0, 1, s[28:29]
	s_mov_b32 s33, s8
	s_addc_u32 s31, s7, 0
	s_lshl_b32 s8, s11, 3
	s_mov_b64 s[34:35], 0
	s_waitcnt lgkmcnt(0)
	v_mov_b32_e32 v11, s17
	v_mov_b32_e32 v12, s36
	v_mov_b32_e32 v13, s19
	v_mov_b32_e32 v14, 0
	v_cmp_ne_u32_e64 s[0:1], 1, v4
	s_branch .LBB28_8
.LBB28_7:                               ;   in Loop: Header=BB28_8 Depth=1
	s_or_b64 exec, exec, s[36:37]
	s_and_b64 s[2:3], exec, s[2:3]
	s_or_b64 s[34:35], s[2:3], s[34:35]
	v_pk_mov_b32 v[2:3], v[8:9], v[8:9] op_sel:[0,1]
	s_andn2_b64 exec, exec, s[34:35]
	s_cbranch_execz .LBB28_42
.LBB28_8:                               ; =>This Loop Header: Depth=1
                                        ;     Child Loop BB28_33 Depth 2
	v_lshlrev_b64 v[4:5], 3, v[0:1]
	v_add_co_u32_e32 v6, vcc, s16, v4
	v_addc_co_u32_e32 v7, vcc, v11, v5, vcc
	global_load_dwordx2 v[6:7], v[6:7], off glc slc
	v_add_co_u32_e32 v4, vcc, s18, v4
	v_addc_co_u32_e32 v5, vcc, v13, v5, vcc
	global_load_dwordx2 v[4:5], v[4:5], off glc slc
	s_waitcnt vmcnt(1)
	v_subrev_co_u32_e32 v6, vcc, s33, v6
	v_subb_co_u32_e32 v7, vcc, v7, v12, vcc
	v_cmp_eq_u64_e32 vcc, s[6:7], v[6:7]
	s_waitcnt vmcnt(0)
	v_cmp_eq_f64_e64 s[2:3], 0, v[4:5]
	s_and_b64 s[4:5], s[28:29], vcc
	s_and_b64 s[2:3], s[2:3], s[4:5]
	s_and_saveexec_b64 s[4:5], s[2:3]
	s_cbranch_execz .LBB28_12
; %bb.9:                                ;   in Loop: Header=BB28_8 Depth=1
	v_mbcnt_lo_u32_b32 v4, exec_lo, 0
	v_mbcnt_hi_u32_b32 v4, exec_hi, v4
	v_cmp_eq_u32_e64 s[2:3], 0, v4
	s_and_saveexec_b64 s[36:37], s[2:3]
	s_cbranch_execz .LBB28_11
; %bb.10:                               ;   in Loop: Header=BB28_8 Depth=1
	v_pk_mov_b32 v[4:5], s[30:31], s[30:31] op_sel:[0,1]
	global_atomic_umin_x2 v14, v[4:5], s[26:27]
.LBB28_11:                              ;   in Loop: Header=BB28_8 Depth=1
	s_or_b64 exec, exec, s[36:37]
	v_mov_b32_e32 v4, 0
	v_mov_b32_e32 v5, 0x3ff00000
.LBB28_12:                              ;   in Loop: Header=BB28_8 Depth=1
	s_or_b64 exec, exec, s[4:5]
	v_cmp_ne_u64_e64 s[2:3], s[6:7], v[6:7]
	s_cmp_lt_i32 s9, 1
	s_mov_b64 s[36:37], 0
	s_cbranch_scc1 .LBB28_21
; %bb.13:                               ;   in Loop: Header=BB28_8 Depth=1
	s_cmp_eq_u32 s9, 1
	s_cbranch_scc0 .LBB28_22
; %bb.14:                               ;   in Loop: Header=BB28_8 Depth=1
	v_cmp_le_i64_e64 s[4:5], s[6:7], v[6:7]
	s_mov_b64 s[38:39], 0
	s_and_saveexec_b64 s[40:41], s[4:5]
	s_cbranch_execz .LBB28_20
; %bb.15:                               ;   in Loop: Header=BB28_8 Depth=1
	s_mov_b64 s[38:39], -1
	s_and_saveexec_b64 s[4:5], vcc
	s_xor_b64 s[4:5], exec, s[4:5]
	s_cbranch_execz .LBB28_19
; %bb.16:                               ;   in Loop: Header=BB28_8 Depth=1
	s_and_b64 vcc, exec, s[0:1]
	s_cbranch_vccnz .LBB28_18
; %bb.17:                               ;   in Loop: Header=BB28_8 Depth=1
	v_div_scale_f64 v[8:9], s[38:39], v[4:5], v[4:5], 1.0
	v_rcp_f64_e32 v[16:17], v[8:9]
	v_div_scale_f64 v[18:19], vcc, 1.0, v[4:5], 1.0
	v_mov_b32_e32 v15, s8
	v_fma_f64 v[20:21], -v[8:9], v[16:17], 1.0
	v_fmac_f64_e32 v[16:17], v[16:17], v[20:21]
	v_fma_f64 v[20:21], -v[8:9], v[16:17], 1.0
	v_fmac_f64_e32 v[16:17], v[16:17], v[20:21]
	v_mul_f64 v[20:21], v[18:19], v[16:17]
	v_fma_f64 v[8:9], -v[8:9], v[20:21], v[18:19]
	v_div_fmas_f64 v[8:9], v[8:9], v[16:17], v[20:21]
	v_div_fixup_f64 v[8:9], v[8:9], v[4:5], 1.0
	ds_write_b64 v15, v[8:9]
.LBB28_18:                              ;   in Loop: Header=BB28_8 Depth=1
	s_xor_b64 s[38:39], exec, -1
.LBB28_19:                              ;   in Loop: Header=BB28_8 Depth=1
	s_or_b64 exec, exec, s[4:5]
	s_and_b64 s[38:39], s[38:39], exec
.LBB28_20:                              ;   in Loop: Header=BB28_8 Depth=1
	s_or_b64 exec, exec, s[40:41]
	s_mov_b32 s17, 4
	v_pk_mov_b32 v[8:9], v[2:3], v[2:3] op_sel:[0,1]
	s_branch .LBB28_23
.LBB28_21:                              ;   in Loop: Header=BB28_8 Depth=1
	s_mov_b64 s[38:39], 0
                                        ; implicit-def: $sgpr17
                                        ; implicit-def: $vgpr8_vgpr9
	s_cbranch_execnz .LBB28_24
	s_branch .LBB28_26
.LBB28_22:                              ;   in Loop: Header=BB28_8 Depth=1
	s_mov_b64 s[38:39], -1
                                        ; implicit-def: $sgpr17
                                        ; implicit-def: $vgpr8_vgpr9
.LBB28_23:                              ;   in Loop: Header=BB28_8 Depth=1
	s_branch .LBB28_26
.LBB28_24:                              ;   in Loop: Header=BB28_8 Depth=1
	s_cmp_eq_u32 s9, 0
	s_cbranch_scc1 .LBB28_28
; %bb.25:                               ;   in Loop: Header=BB28_8 Depth=1
	s_mov_b64 s[38:39], -1
                                        ; implicit-def: $sgpr17
                                        ; implicit-def: $vgpr8_vgpr9
.LBB28_26:                              ;   in Loop: Header=BB28_8 Depth=1
	v_mov_b32_e32 v15, s17
	s_and_saveexec_b64 s[2:3], s[38:39]
	s_cbranch_execnz .LBB28_31
.LBB28_27:                              ;   in Loop: Header=BB28_8 Depth=1
	s_or_b64 exec, exec, s[2:3]
	s_and_saveexec_b64 s[2:3], s[36:37]
	s_cbranch_execnz .LBB28_35
	s_branch .LBB28_38
.LBB28_28:                              ;   in Loop: Header=BB28_8 Depth=1
	v_cmp_ge_i64_e32 vcc, s[6:7], v[6:7]
	s_mov_b64 s[38:39], 0
	s_and_saveexec_b64 s[4:5], vcc
; %bb.29:                               ;   in Loop: Header=BB28_8 Depth=1
	s_mov_b64 s[36:37], exec
	s_and_b64 s[38:39], s[2:3], exec
; %bb.30:                               ;   in Loop: Header=BB28_8 Depth=1
	s_or_b64 exec, exec, s[4:5]
	s_mov_b32 s17, 2
	v_pk_mov_b32 v[8:9], v[2:3], v[2:3] op_sel:[0,1]
	v_mov_b32_e32 v15, s17
	s_and_saveexec_b64 s[2:3], s[38:39]
	s_cbranch_execz .LBB28_27
.LBB28_31:                              ;   in Loop: Header=BB28_8 Depth=1
	v_lshlrev_b64 v[8:9], 2, v[6:7]
	v_mov_b32_e32 v15, s15
	v_add_co_u32_e32 v8, vcc, s14, v8
	v_addc_co_u32_e32 v9, vcc, v15, v9, vcc
	global_load_dword v15, v[8:9], off glc
	s_waitcnt vmcnt(0)
	v_cmp_eq_u32_e32 vcc, 0, v15
	s_and_saveexec_b64 s[4:5], vcc
	s_cbranch_execz .LBB28_34
; %bb.32:                               ;   in Loop: Header=BB28_8 Depth=1
	s_mov_b64 s[38:39], 0
.LBB28_33:                              ;   Parent Loop BB28_8 Depth=1
                                        ; =>  This Inner Loop Header: Depth=2
	global_load_dword v15, v[8:9], off glc
	s_waitcnt vmcnt(0)
	v_cmp_ne_u32_e32 vcc, 0, v15
	s_or_b64 s[38:39], vcc, s[38:39]
	s_andn2_b64 exec, exec, s[38:39]
	s_cbranch_execnz .LBB28_33
.LBB28_34:                              ;   in Loop: Header=BB28_8 Depth=1
	s_or_b64 exec, exec, s[4:5]
	v_lshlrev_b64 v[6:7], 3, v[6:7]
	v_mov_b32_e32 v8, s13
	v_add_co_u32_e32 v6, vcc, s12, v6
	v_addc_co_u32_e32 v7, vcc, v8, v7, vcc
	s_waitcnt lgkmcnt(0)
	buffer_wbinvl1_vol
	global_load_dwordx2 v[6:7], v[6:7], off
	v_mov_b32_e32 v15, 0
	s_andn2_b64 s[36:37], s[36:37], exec
	s_waitcnt vmcnt(0)
	v_fma_f64 v[8:9], -v[4:5], v[6:7], v[2:3]
	s_or_b64 exec, exec, s[2:3]
	s_and_saveexec_b64 s[2:3], s[36:37]
	s_cbranch_execz .LBB28_38
.LBB28_35:                              ;   in Loop: Header=BB28_8 Depth=1
	s_and_b64 vcc, exec, s[0:1]
	s_cbranch_vccnz .LBB28_37
; %bb.36:                               ;   in Loop: Header=BB28_8 Depth=1
	v_div_scale_f64 v[6:7], s[4:5], v[4:5], v[4:5], 1.0
	v_rcp_f64_e32 v[8:9], v[6:7]
	v_div_scale_f64 v[16:17], vcc, 1.0, v[4:5], 1.0
	v_fma_f64 v[18:19], -v[6:7], v[8:9], 1.0
	v_fmac_f64_e32 v[8:9], v[8:9], v[18:19]
	v_fma_f64 v[18:19], -v[6:7], v[8:9], 1.0
	v_fmac_f64_e32 v[8:9], v[8:9], v[18:19]
	v_mul_f64 v[18:19], v[16:17], v[8:9]
	v_fma_f64 v[6:7], -v[6:7], v[18:19], v[16:17]
	v_div_fmas_f64 v[6:7], v[6:7], v[8:9], v[18:19]
	v_div_fixup_f64 v[4:5], v[6:7], v[4:5], 1.0
	v_mov_b32_e32 v6, s8
	ds_write_b64 v6, v[4:5]
.LBB28_37:                              ;   in Loop: Header=BB28_8 Depth=1
	v_mov_b32_e32 v15, 2
	v_pk_mov_b32 v[8:9], v[2:3], v[2:3] op_sel:[0,1]
.LBB28_38:                              ;   in Loop: Header=BB28_8 Depth=1
	s_or_b64 exec, exec, s[2:3]
	v_cmp_gt_i32_e32 vcc, 4, v15
	s_mov_b64 s[2:3], -1
	s_mov_b64 s[4:5], -1
	s_and_saveexec_b64 s[36:37], vcc
; %bb.39:                               ;   in Loop: Header=BB28_8 Depth=1
	v_cmp_eq_u32_e32 vcc, 0, v15
	s_orn2_b64 s[4:5], vcc, exec
; %bb.40:                               ;   in Loop: Header=BB28_8 Depth=1
	s_or_b64 exec, exec, s[36:37]
	s_and_saveexec_b64 s[36:37], s[4:5]
	s_cbranch_execz .LBB28_7
; %bb.41:                               ;   in Loop: Header=BB28_8 Depth=1
	v_add_co_u32_e32 v0, vcc, 32, v0
	v_addc_co_u32_e32 v1, vcc, 0, v1, vcc
	v_cmp_le_i64_e32 vcc, s[22:23], v[0:1]
	s_orn2_b64 s[2:3], vcc, exec
	s_branch .LBB28_7
.LBB28_42:
	s_or_b64 exec, exec, s[34:35]
	v_pk_mov_b32 v[2:3], v[8:9], v[8:9] op_sel:[0,1]
.LBB28_43:
	s_or_b64 exec, exec, s[24:25]
	s_nop 0
	v_mov_b32_dpp v0, v2 row_shr:1 row_mask:0xf bank_mask:0xf
	v_mov_b32_dpp v1, v3 row_shr:1 row_mask:0xf bank_mask:0xf
	v_add_f64 v[0:1], v[2:3], v[0:1]
	s_cmp_lg_u32 s10, 0
	s_nop 0
	v_mov_b32_dpp v2, v0 row_shr:2 row_mask:0xf bank_mask:0xf
	v_mov_b32_dpp v3, v1 row_shr:2 row_mask:0xf bank_mask:0xf
	v_add_f64 v[0:1], v[0:1], v[2:3]
	s_nop 1
	v_mov_b32_dpp v2, v0 row_shr:4 row_mask:0xf bank_mask:0xe
	v_mov_b32_dpp v3, v1 row_shr:4 row_mask:0xf bank_mask:0xe
	v_add_f64 v[0:1], v[0:1], v[2:3]
	;; [unrolled: 4-line block ×3, first 2 shown]
	s_nop 1
	v_mov_b32_dpp v2, v0 row_bcast:15 row_mask:0xa bank_mask:0xf
	v_mov_b32_dpp v3, v1 row_bcast:15 row_mask:0xa bank_mask:0xf
	v_add_f64 v[0:1], v[0:1], v[2:3]
	s_cbranch_scc0 .LBB28_47
; %bb.44:
	v_cmp_eq_u32_e32 vcc, 31, v10
	s_and_saveexec_b64 s[0:1], vcc
	s_cbranch_execz .LBB28_46
.LBB28_45:
	s_add_u32 s0, s12, s20
	s_addc_u32 s1, s13, s21
	s_lshl_b64 s[2:3], s[6:7], 2
	v_mov_b32_e32 v2, 0
	s_add_u32 s2, s14, s2
	s_addc_u32 s3, s15, s3
	global_store_dwordx2 v2, v[0:1], s[0:1] glc slc
	v_mov_b32_e32 v0, 1
	s_waitcnt vmcnt(0)
	global_store_dword v2, v0, s[2:3]
.LBB28_46:
	s_endpgm
.LBB28_47:
	s_lshl_b32 s0, s11, 3
	v_mov_b32_e32 v2, s0
	s_waitcnt lgkmcnt(0)
	ds_read_b64 v[2:3], v2
	s_waitcnt lgkmcnt(0)
	v_mul_f64 v[0:1], v[0:1], v[2:3]
	v_cmp_eq_u32_e32 vcc, 31, v10
	s_and_saveexec_b64 s[0:1], vcc
	s_cbranch_execnz .LBB28_45
	s_branch .LBB28_46
	.section	.rodata,"a",@progbits
	.p2align	6, 0x0
	.amdhsa_kernel _ZN9rocsparseL12csrsv_kernelILj1024ELj32ELb0ElldEEvT3_NS_24const_host_device_scalarIT4_EEPKT2_PKS1_PKS3_SB_lPS3_PiS9_iPS1_21rocsparse_index_base_20rocsparse_fill_mode_20rocsparse_diag_type_b
		.amdhsa_group_segment_fixed_size 256
		.amdhsa_private_segment_fixed_size 0
		.amdhsa_kernarg_size 112
		.amdhsa_user_sgpr_count 6
		.amdhsa_user_sgpr_private_segment_buffer 1
		.amdhsa_user_sgpr_dispatch_ptr 0
		.amdhsa_user_sgpr_queue_ptr 0
		.amdhsa_user_sgpr_kernarg_segment_ptr 1
		.amdhsa_user_sgpr_dispatch_id 0
		.amdhsa_user_sgpr_flat_scratch_init 0
		.amdhsa_user_sgpr_kernarg_preload_length 0
		.amdhsa_user_sgpr_kernarg_preload_offset 0
		.amdhsa_user_sgpr_private_segment_size 0
		.amdhsa_uses_dynamic_stack 0
		.amdhsa_system_sgpr_private_segment_wavefront_offset 0
		.amdhsa_system_sgpr_workgroup_id_x 1
		.amdhsa_system_sgpr_workgroup_id_y 0
		.amdhsa_system_sgpr_workgroup_id_z 0
		.amdhsa_system_sgpr_workgroup_info 0
		.amdhsa_system_vgpr_workitem_id 0
		.amdhsa_next_free_vgpr 22
		.amdhsa_next_free_sgpr 42
		.amdhsa_accum_offset 24
		.amdhsa_reserve_vcc 1
		.amdhsa_reserve_flat_scratch 0
		.amdhsa_float_round_mode_32 0
		.amdhsa_float_round_mode_16_64 0
		.amdhsa_float_denorm_mode_32 3
		.amdhsa_float_denorm_mode_16_64 3
		.amdhsa_dx10_clamp 1
		.amdhsa_ieee_mode 1
		.amdhsa_fp16_overflow 0
		.amdhsa_tg_split 0
		.amdhsa_exception_fp_ieee_invalid_op 0
		.amdhsa_exception_fp_denorm_src 0
		.amdhsa_exception_fp_ieee_div_zero 0
		.amdhsa_exception_fp_ieee_overflow 0
		.amdhsa_exception_fp_ieee_underflow 0
		.amdhsa_exception_fp_ieee_inexact 0
		.amdhsa_exception_int_div_zero 0
	.end_amdhsa_kernel
	.section	.text._ZN9rocsparseL12csrsv_kernelILj1024ELj32ELb0ElldEEvT3_NS_24const_host_device_scalarIT4_EEPKT2_PKS1_PKS3_SB_lPS3_PiS9_iPS1_21rocsparse_index_base_20rocsparse_fill_mode_20rocsparse_diag_type_b,"axG",@progbits,_ZN9rocsparseL12csrsv_kernelILj1024ELj32ELb0ElldEEvT3_NS_24const_host_device_scalarIT4_EEPKT2_PKS1_PKS3_SB_lPS3_PiS9_iPS1_21rocsparse_index_base_20rocsparse_fill_mode_20rocsparse_diag_type_b,comdat
.Lfunc_end28:
	.size	_ZN9rocsparseL12csrsv_kernelILj1024ELj32ELb0ElldEEvT3_NS_24const_host_device_scalarIT4_EEPKT2_PKS1_PKS3_SB_lPS3_PiS9_iPS1_21rocsparse_index_base_20rocsparse_fill_mode_20rocsparse_diag_type_b, .Lfunc_end28-_ZN9rocsparseL12csrsv_kernelILj1024ELj32ELb0ElldEEvT3_NS_24const_host_device_scalarIT4_EEPKT2_PKS1_PKS3_SB_lPS3_PiS9_iPS1_21rocsparse_index_base_20rocsparse_fill_mode_20rocsparse_diag_type_b
                                        ; -- End function
	.section	.AMDGPU.csdata,"",@progbits
; Kernel info:
; codeLenInByte = 1504
; NumSgprs: 46
; NumVgprs: 22
; NumAgprs: 0
; TotalNumVgprs: 22
; ScratchSize: 0
; MemoryBound: 0
; FloatMode: 240
; IeeeMode: 1
; LDSByteSize: 256 bytes/workgroup (compile time only)
; SGPRBlocks: 5
; VGPRBlocks: 2
; NumSGPRsForWavesPerEU: 46
; NumVGPRsForWavesPerEU: 22
; AccumOffset: 24
; Occupancy: 8
; WaveLimiterHint : 1
; COMPUTE_PGM_RSRC2:SCRATCH_EN: 0
; COMPUTE_PGM_RSRC2:USER_SGPR: 6
; COMPUTE_PGM_RSRC2:TRAP_HANDLER: 0
; COMPUTE_PGM_RSRC2:TGID_X_EN: 1
; COMPUTE_PGM_RSRC2:TGID_Y_EN: 0
; COMPUTE_PGM_RSRC2:TGID_Z_EN: 0
; COMPUTE_PGM_RSRC2:TIDIG_COMP_CNT: 0
; COMPUTE_PGM_RSRC3_GFX90A:ACCUM_OFFSET: 5
; COMPUTE_PGM_RSRC3_GFX90A:TG_SPLIT: 0
	.section	.text._ZN9rocsparseL12csrsv_kernelILj1024ELj64ELb0ElldEEvT3_NS_24const_host_device_scalarIT4_EEPKT2_PKS1_PKS3_SB_lPS3_PiS9_iPS1_21rocsparse_index_base_20rocsparse_fill_mode_20rocsparse_diag_type_b,"axG",@progbits,_ZN9rocsparseL12csrsv_kernelILj1024ELj64ELb0ElldEEvT3_NS_24const_host_device_scalarIT4_EEPKT2_PKS1_PKS3_SB_lPS3_PiS9_iPS1_21rocsparse_index_base_20rocsparse_fill_mode_20rocsparse_diag_type_b,comdat
	.globl	_ZN9rocsparseL12csrsv_kernelILj1024ELj64ELb0ElldEEvT3_NS_24const_host_device_scalarIT4_EEPKT2_PKS1_PKS3_SB_lPS3_PiS9_iPS1_21rocsparse_index_base_20rocsparse_fill_mode_20rocsparse_diag_type_b ; -- Begin function _ZN9rocsparseL12csrsv_kernelILj1024ELj64ELb0ElldEEvT3_NS_24const_host_device_scalarIT4_EEPKT2_PKS1_PKS3_SB_lPS3_PiS9_iPS1_21rocsparse_index_base_20rocsparse_fill_mode_20rocsparse_diag_type_b
	.p2align	8
	.type	_ZN9rocsparseL12csrsv_kernelILj1024ELj64ELb0ElldEEvT3_NS_24const_host_device_scalarIT4_EEPKT2_PKS1_PKS3_SB_lPS3_PiS9_iPS1_21rocsparse_index_base_20rocsparse_fill_mode_20rocsparse_diag_type_b,@function
_ZN9rocsparseL12csrsv_kernelILj1024ELj64ELb0ElldEEvT3_NS_24const_host_device_scalarIT4_EEPKT2_PKS1_PKS3_SB_lPS3_PiS9_iPS1_21rocsparse_index_base_20rocsparse_fill_mode_20rocsparse_diag_type_b: ; @_ZN9rocsparseL12csrsv_kernelILj1024ELj64ELb0ElldEEvT3_NS_24const_host_device_scalarIT4_EEPKT2_PKS1_PKS3_SB_lPS3_PiS9_iPS1_21rocsparse_index_base_20rocsparse_fill_mode_20rocsparse_diag_type_b
; %bb.0:
	s_load_dwordx4 s[8:11], s[4:5], 0x60
	s_load_dwordx4 s[0:3], s[4:5], 0x0
	s_waitcnt lgkmcnt(0)
	s_bitcmp1_b32 s11, 0
	s_cselect_b64 s[12:13], -1, 0
	s_and_b64 vcc, exec, s[12:13]
	v_pk_mov_b32 v[4:5], s[2:3], s[2:3] op_sel:[0,1]
	s_cbranch_vccnz .LBB29_2
; %bb.1:
	v_pk_mov_b32 v[2:3], s[2:3], s[2:3] op_sel:[0,1]
	flat_load_dwordx2 v[4:5], v[2:3]
.LBB29_2:
	v_lshrrev_b32_e32 v1, 6, v0
	v_mov_b32_e32 v2, s0
	v_readfirstlane_b32 s11, v1
	s_lshl_b32 s0, s6, 4
	v_mov_b32_e32 v3, s1
	s_add_i32 s0, s11, s0
	s_mov_b32 s1, 0
	v_cmp_ge_i64_e32 vcc, s[0:1], v[2:3]
	s_cbranch_vccnz .LBB29_46
; %bb.3:
	s_load_dword s2, s[4:5], 0x50
	s_load_dwordx2 s[6:7], s[4:5], 0x48
	s_lshl_b64 s[0:1], s[0:1], 3
	v_and_b32_e32 v10, 63, v0
	v_cmp_eq_u32_e32 vcc, 0, v10
	s_waitcnt lgkmcnt(0)
	s_ashr_i32 s3, s2, 31
	s_add_u32 s6, s6, s0
	s_addc_u32 s7, s7, s1
	s_lshl_b64 s[0:1], s[2:3], 3
	s_add_u32 s0, s6, s0
	s_addc_u32 s1, s7, s1
	s_load_dwordx2 s[6:7], s[0:1], 0x0
	s_load_dwordx2 s[2:3], s[4:5], 0x10
	s_load_dwordx4 s[12:15], s[4:5], 0x38
	v_pk_mov_b32 v[2:3], 0, 0
	s_waitcnt lgkmcnt(0)
	s_lshl_b64 s[20:21], s[6:7], 3
	s_add_u32 s0, s2, s20
	s_addc_u32 s1, s3, s21
	s_load_dwordx4 s[0:3], s[0:1], 0x0
	s_and_saveexec_b64 s[16:17], vcc
	s_cbranch_execz .LBB29_5
; %bb.4:
	s_load_dwordx4 s[24:27], s[4:5], 0x28
	s_waitcnt lgkmcnt(0)
	s_mul_i32 s18, s6, s27
	s_mul_hi_u32 s19, s6, s26
	s_mul_i32 s22, s7, s26
	s_add_i32 s18, s19, s18
	s_add_i32 s19, s18, s22
	s_mul_i32 s18, s6, s26
	s_lshl_b64 s[18:19], s[18:19], 3
	s_add_u32 s18, s24, s18
	s_addc_u32 s19, s25, s19
	s_load_dwordx2 s[18:19], s[18:19], 0x0
	s_waitcnt vmcnt(0) lgkmcnt(0)
	v_mul_f64 v[2:3], v[4:5], s[18:19]
.LBB29_5:
	s_or_b64 exec, exec, s[16:17]
	s_waitcnt lgkmcnt(0)
	s_sub_u32 s22, s2, s8
	v_subrev_co_u32_e32 v0, vcc, s8, v10
	s_subb_u32 s23, s3, 0
	v_subb_co_u32_e64 v1, s[2:3], 0, 0, vcc
	s_waitcnt vmcnt(0)
	v_mov_b32_e32 v4, s1
	v_add_co_u32_e32 v0, vcc, s0, v0
	v_addc_co_u32_e32 v1, vcc, v4, v1, vcc
	s_mov_b32 s36, 0
	v_cmp_gt_i64_e32 vcc, s[22:23], v[0:1]
	s_and_saveexec_b64 s[24:25], vcc
	s_cbranch_execz .LBB29_43
; %bb.6:
	s_load_dwordx2 s[26:27], s[4:5], 0x58
	s_load_dwordx4 s[16:19], s[4:5], 0x18
	s_cmp_eq_u32 s10, 0
	s_cselect_b64 s[28:29], -1, 0
	s_add_u32 s30, s6, s8
	v_cndmask_b32_e64 v4, 0, 1, s[28:29]
	s_mov_b32 s33, s8
	s_addc_u32 s31, s7, 0
	s_lshl_b32 s8, s11, 3
	s_mov_b64 s[34:35], 0
	s_waitcnt lgkmcnt(0)
	v_mov_b32_e32 v11, s17
	v_mov_b32_e32 v12, s36
	;; [unrolled: 1-line block ×4, first 2 shown]
	v_cmp_ne_u32_e64 s[0:1], 1, v4
	s_branch .LBB29_8
.LBB29_7:                               ;   in Loop: Header=BB29_8 Depth=1
	s_or_b64 exec, exec, s[36:37]
	s_and_b64 s[2:3], exec, s[2:3]
	s_or_b64 s[34:35], s[2:3], s[34:35]
	v_pk_mov_b32 v[2:3], v[8:9], v[8:9] op_sel:[0,1]
	s_andn2_b64 exec, exec, s[34:35]
	s_cbranch_execz .LBB29_42
.LBB29_8:                               ; =>This Loop Header: Depth=1
                                        ;     Child Loop BB29_33 Depth 2
	v_lshlrev_b64 v[4:5], 3, v[0:1]
	v_add_co_u32_e32 v6, vcc, s16, v4
	v_addc_co_u32_e32 v7, vcc, v11, v5, vcc
	global_load_dwordx2 v[6:7], v[6:7], off glc slc
	v_add_co_u32_e32 v4, vcc, s18, v4
	v_addc_co_u32_e32 v5, vcc, v13, v5, vcc
	global_load_dwordx2 v[4:5], v[4:5], off glc slc
	s_waitcnt vmcnt(1)
	v_subrev_co_u32_e32 v6, vcc, s33, v6
	v_subb_co_u32_e32 v7, vcc, v7, v12, vcc
	v_cmp_eq_u64_e32 vcc, s[6:7], v[6:7]
	s_waitcnt vmcnt(0)
	v_cmp_eq_f64_e64 s[2:3], 0, v[4:5]
	s_and_b64 s[4:5], s[28:29], vcc
	s_and_b64 s[2:3], s[2:3], s[4:5]
	s_and_saveexec_b64 s[4:5], s[2:3]
	s_cbranch_execz .LBB29_12
; %bb.9:                                ;   in Loop: Header=BB29_8 Depth=1
	v_mbcnt_lo_u32_b32 v4, exec_lo, 0
	v_mbcnt_hi_u32_b32 v4, exec_hi, v4
	v_cmp_eq_u32_e64 s[2:3], 0, v4
	s_and_saveexec_b64 s[36:37], s[2:3]
	s_cbranch_execz .LBB29_11
; %bb.10:                               ;   in Loop: Header=BB29_8 Depth=1
	v_pk_mov_b32 v[4:5], s[30:31], s[30:31] op_sel:[0,1]
	global_atomic_umin_x2 v14, v[4:5], s[26:27]
.LBB29_11:                              ;   in Loop: Header=BB29_8 Depth=1
	s_or_b64 exec, exec, s[36:37]
	v_mov_b32_e32 v4, 0
	v_mov_b32_e32 v5, 0x3ff00000
.LBB29_12:                              ;   in Loop: Header=BB29_8 Depth=1
	s_or_b64 exec, exec, s[4:5]
	v_cmp_ne_u64_e64 s[2:3], s[6:7], v[6:7]
	s_cmp_lt_i32 s9, 1
	s_mov_b64 s[36:37], 0
	s_cbranch_scc1 .LBB29_21
; %bb.13:                               ;   in Loop: Header=BB29_8 Depth=1
	s_cmp_eq_u32 s9, 1
	s_cbranch_scc0 .LBB29_22
; %bb.14:                               ;   in Loop: Header=BB29_8 Depth=1
	v_cmp_le_i64_e64 s[4:5], s[6:7], v[6:7]
	s_mov_b64 s[38:39], 0
	s_and_saveexec_b64 s[40:41], s[4:5]
	s_cbranch_execz .LBB29_20
; %bb.15:                               ;   in Loop: Header=BB29_8 Depth=1
	s_mov_b64 s[38:39], -1
	s_and_saveexec_b64 s[4:5], vcc
	s_xor_b64 s[4:5], exec, s[4:5]
	s_cbranch_execz .LBB29_19
; %bb.16:                               ;   in Loop: Header=BB29_8 Depth=1
	s_and_b64 vcc, exec, s[0:1]
	s_cbranch_vccnz .LBB29_18
; %bb.17:                               ;   in Loop: Header=BB29_8 Depth=1
	v_div_scale_f64 v[8:9], s[38:39], v[4:5], v[4:5], 1.0
	v_rcp_f64_e32 v[16:17], v[8:9]
	v_div_scale_f64 v[18:19], vcc, 1.0, v[4:5], 1.0
	v_mov_b32_e32 v15, s8
	v_fma_f64 v[20:21], -v[8:9], v[16:17], 1.0
	v_fmac_f64_e32 v[16:17], v[16:17], v[20:21]
	v_fma_f64 v[20:21], -v[8:9], v[16:17], 1.0
	v_fmac_f64_e32 v[16:17], v[16:17], v[20:21]
	v_mul_f64 v[20:21], v[18:19], v[16:17]
	v_fma_f64 v[8:9], -v[8:9], v[20:21], v[18:19]
	v_div_fmas_f64 v[8:9], v[8:9], v[16:17], v[20:21]
	v_div_fixup_f64 v[8:9], v[8:9], v[4:5], 1.0
	ds_write_b64 v15, v[8:9]
.LBB29_18:                              ;   in Loop: Header=BB29_8 Depth=1
	s_xor_b64 s[38:39], exec, -1
.LBB29_19:                              ;   in Loop: Header=BB29_8 Depth=1
	s_or_b64 exec, exec, s[4:5]
	s_and_b64 s[38:39], s[38:39], exec
.LBB29_20:                              ;   in Loop: Header=BB29_8 Depth=1
	s_or_b64 exec, exec, s[40:41]
	s_mov_b32 s17, 4
	v_pk_mov_b32 v[8:9], v[2:3], v[2:3] op_sel:[0,1]
	s_branch .LBB29_23
.LBB29_21:                              ;   in Loop: Header=BB29_8 Depth=1
	s_mov_b64 s[38:39], 0
                                        ; implicit-def: $sgpr17
                                        ; implicit-def: $vgpr8_vgpr9
	s_cbranch_execnz .LBB29_24
	s_branch .LBB29_26
.LBB29_22:                              ;   in Loop: Header=BB29_8 Depth=1
	s_mov_b64 s[38:39], -1
                                        ; implicit-def: $sgpr17
                                        ; implicit-def: $vgpr8_vgpr9
.LBB29_23:                              ;   in Loop: Header=BB29_8 Depth=1
	s_branch .LBB29_26
.LBB29_24:                              ;   in Loop: Header=BB29_8 Depth=1
	s_cmp_eq_u32 s9, 0
	s_cbranch_scc1 .LBB29_28
; %bb.25:                               ;   in Loop: Header=BB29_8 Depth=1
	s_mov_b64 s[38:39], -1
                                        ; implicit-def: $sgpr17
                                        ; implicit-def: $vgpr8_vgpr9
.LBB29_26:                              ;   in Loop: Header=BB29_8 Depth=1
	v_mov_b32_e32 v15, s17
	s_and_saveexec_b64 s[2:3], s[38:39]
	s_cbranch_execnz .LBB29_31
.LBB29_27:                              ;   in Loop: Header=BB29_8 Depth=1
	s_or_b64 exec, exec, s[2:3]
	s_and_saveexec_b64 s[2:3], s[36:37]
	s_cbranch_execnz .LBB29_35
	s_branch .LBB29_38
.LBB29_28:                              ;   in Loop: Header=BB29_8 Depth=1
	v_cmp_ge_i64_e32 vcc, s[6:7], v[6:7]
	s_mov_b64 s[38:39], 0
	s_and_saveexec_b64 s[4:5], vcc
; %bb.29:                               ;   in Loop: Header=BB29_8 Depth=1
	s_mov_b64 s[36:37], exec
	s_and_b64 s[38:39], s[2:3], exec
; %bb.30:                               ;   in Loop: Header=BB29_8 Depth=1
	s_or_b64 exec, exec, s[4:5]
	s_mov_b32 s17, 2
	v_pk_mov_b32 v[8:9], v[2:3], v[2:3] op_sel:[0,1]
	v_mov_b32_e32 v15, s17
	s_and_saveexec_b64 s[2:3], s[38:39]
	s_cbranch_execz .LBB29_27
.LBB29_31:                              ;   in Loop: Header=BB29_8 Depth=1
	v_lshlrev_b64 v[8:9], 2, v[6:7]
	v_mov_b32_e32 v15, s15
	v_add_co_u32_e32 v8, vcc, s14, v8
	v_addc_co_u32_e32 v9, vcc, v15, v9, vcc
	global_load_dword v15, v[8:9], off glc
	s_waitcnt vmcnt(0)
	v_cmp_eq_u32_e32 vcc, 0, v15
	s_and_saveexec_b64 s[4:5], vcc
	s_cbranch_execz .LBB29_34
; %bb.32:                               ;   in Loop: Header=BB29_8 Depth=1
	s_mov_b64 s[38:39], 0
.LBB29_33:                              ;   Parent Loop BB29_8 Depth=1
                                        ; =>  This Inner Loop Header: Depth=2
	global_load_dword v15, v[8:9], off glc
	s_waitcnt vmcnt(0)
	v_cmp_ne_u32_e32 vcc, 0, v15
	s_or_b64 s[38:39], vcc, s[38:39]
	s_andn2_b64 exec, exec, s[38:39]
	s_cbranch_execnz .LBB29_33
.LBB29_34:                              ;   in Loop: Header=BB29_8 Depth=1
	s_or_b64 exec, exec, s[4:5]
	v_lshlrev_b64 v[6:7], 3, v[6:7]
	v_mov_b32_e32 v8, s13
	v_add_co_u32_e32 v6, vcc, s12, v6
	v_addc_co_u32_e32 v7, vcc, v8, v7, vcc
	s_waitcnt lgkmcnt(0)
	buffer_wbinvl1_vol
	global_load_dwordx2 v[6:7], v[6:7], off
	v_mov_b32_e32 v15, 0
	s_andn2_b64 s[36:37], s[36:37], exec
	s_waitcnt vmcnt(0)
	v_fma_f64 v[8:9], -v[4:5], v[6:7], v[2:3]
	s_or_b64 exec, exec, s[2:3]
	s_and_saveexec_b64 s[2:3], s[36:37]
	s_cbranch_execz .LBB29_38
.LBB29_35:                              ;   in Loop: Header=BB29_8 Depth=1
	s_and_b64 vcc, exec, s[0:1]
	s_cbranch_vccnz .LBB29_37
; %bb.36:                               ;   in Loop: Header=BB29_8 Depth=1
	v_div_scale_f64 v[6:7], s[4:5], v[4:5], v[4:5], 1.0
	v_rcp_f64_e32 v[8:9], v[6:7]
	v_div_scale_f64 v[16:17], vcc, 1.0, v[4:5], 1.0
	v_fma_f64 v[18:19], -v[6:7], v[8:9], 1.0
	v_fmac_f64_e32 v[8:9], v[8:9], v[18:19]
	v_fma_f64 v[18:19], -v[6:7], v[8:9], 1.0
	v_fmac_f64_e32 v[8:9], v[8:9], v[18:19]
	v_mul_f64 v[18:19], v[16:17], v[8:9]
	v_fma_f64 v[6:7], -v[6:7], v[18:19], v[16:17]
	v_div_fmas_f64 v[6:7], v[6:7], v[8:9], v[18:19]
	v_div_fixup_f64 v[4:5], v[6:7], v[4:5], 1.0
	v_mov_b32_e32 v6, s8
	ds_write_b64 v6, v[4:5]
.LBB29_37:                              ;   in Loop: Header=BB29_8 Depth=1
	v_mov_b32_e32 v15, 2
	v_pk_mov_b32 v[8:9], v[2:3], v[2:3] op_sel:[0,1]
.LBB29_38:                              ;   in Loop: Header=BB29_8 Depth=1
	s_or_b64 exec, exec, s[2:3]
	v_cmp_gt_i32_e32 vcc, 4, v15
	s_mov_b64 s[2:3], -1
	s_mov_b64 s[4:5], -1
	s_and_saveexec_b64 s[36:37], vcc
; %bb.39:                               ;   in Loop: Header=BB29_8 Depth=1
	v_cmp_eq_u32_e32 vcc, 0, v15
	s_orn2_b64 s[4:5], vcc, exec
; %bb.40:                               ;   in Loop: Header=BB29_8 Depth=1
	s_or_b64 exec, exec, s[36:37]
	s_and_saveexec_b64 s[36:37], s[4:5]
	s_cbranch_execz .LBB29_7
; %bb.41:                               ;   in Loop: Header=BB29_8 Depth=1
	v_add_co_u32_e32 v0, vcc, 64, v0
	v_addc_co_u32_e32 v1, vcc, 0, v1, vcc
	v_cmp_le_i64_e32 vcc, s[22:23], v[0:1]
	s_orn2_b64 s[2:3], vcc, exec
	s_branch .LBB29_7
.LBB29_42:
	s_or_b64 exec, exec, s[34:35]
	v_pk_mov_b32 v[2:3], v[8:9], v[8:9] op_sel:[0,1]
.LBB29_43:
	s_or_b64 exec, exec, s[24:25]
	s_nop 0
	v_mov_b32_dpp v0, v2 row_shr:1 row_mask:0xf bank_mask:0xf
	v_mov_b32_dpp v1, v3 row_shr:1 row_mask:0xf bank_mask:0xf
	v_add_f64 v[0:1], v[2:3], v[0:1]
	s_cmp_lg_u32 s10, 0
	s_nop 0
	v_mov_b32_dpp v2, v0 row_shr:2 row_mask:0xf bank_mask:0xf
	v_mov_b32_dpp v3, v1 row_shr:2 row_mask:0xf bank_mask:0xf
	v_add_f64 v[0:1], v[0:1], v[2:3]
	s_nop 1
	v_mov_b32_dpp v2, v0 row_shr:4 row_mask:0xf bank_mask:0xe
	v_mov_b32_dpp v3, v1 row_shr:4 row_mask:0xf bank_mask:0xe
	v_add_f64 v[0:1], v[0:1], v[2:3]
	;; [unrolled: 4-line block ×3, first 2 shown]
	s_nop 1
	v_mov_b32_dpp v2, v0 row_bcast:15 row_mask:0xa bank_mask:0xf
	v_mov_b32_dpp v3, v1 row_bcast:15 row_mask:0xa bank_mask:0xf
	v_add_f64 v[0:1], v[0:1], v[2:3]
	s_nop 1
	v_mov_b32_dpp v2, v0 row_bcast:31 row_mask:0xc bank_mask:0xf
	v_mov_b32_dpp v3, v1 row_bcast:31 row_mask:0xc bank_mask:0xf
	v_add_f64 v[0:1], v[0:1], v[2:3]
	s_cbranch_scc0 .LBB29_47
; %bb.44:
	v_cmp_eq_u32_e32 vcc, 63, v10
	s_and_saveexec_b64 s[0:1], vcc
	s_cbranch_execz .LBB29_46
.LBB29_45:
	s_add_u32 s0, s12, s20
	s_addc_u32 s1, s13, s21
	s_lshl_b64 s[2:3], s[6:7], 2
	v_mov_b32_e32 v2, 0
	s_add_u32 s2, s14, s2
	s_addc_u32 s3, s15, s3
	global_store_dwordx2 v2, v[0:1], s[0:1] glc slc
	v_mov_b32_e32 v0, 1
	s_waitcnt vmcnt(0)
	global_store_dword v2, v0, s[2:3]
.LBB29_46:
	s_endpgm
.LBB29_47:
	s_lshl_b32 s0, s11, 3
	v_mov_b32_e32 v2, s0
	s_waitcnt lgkmcnt(0)
	ds_read_b64 v[2:3], v2
	s_waitcnt lgkmcnt(0)
	v_mul_f64 v[0:1], v[0:1], v[2:3]
	v_cmp_eq_u32_e32 vcc, 63, v10
	s_and_saveexec_b64 s[0:1], vcc
	s_cbranch_execnz .LBB29_45
	s_branch .LBB29_46
	.section	.rodata,"a",@progbits
	.p2align	6, 0x0
	.amdhsa_kernel _ZN9rocsparseL12csrsv_kernelILj1024ELj64ELb0ElldEEvT3_NS_24const_host_device_scalarIT4_EEPKT2_PKS1_PKS3_SB_lPS3_PiS9_iPS1_21rocsparse_index_base_20rocsparse_fill_mode_20rocsparse_diag_type_b
		.amdhsa_group_segment_fixed_size 128
		.amdhsa_private_segment_fixed_size 0
		.amdhsa_kernarg_size 112
		.amdhsa_user_sgpr_count 6
		.amdhsa_user_sgpr_private_segment_buffer 1
		.amdhsa_user_sgpr_dispatch_ptr 0
		.amdhsa_user_sgpr_queue_ptr 0
		.amdhsa_user_sgpr_kernarg_segment_ptr 1
		.amdhsa_user_sgpr_dispatch_id 0
		.amdhsa_user_sgpr_flat_scratch_init 0
		.amdhsa_user_sgpr_kernarg_preload_length 0
		.amdhsa_user_sgpr_kernarg_preload_offset 0
		.amdhsa_user_sgpr_private_segment_size 0
		.amdhsa_uses_dynamic_stack 0
		.amdhsa_system_sgpr_private_segment_wavefront_offset 0
		.amdhsa_system_sgpr_workgroup_id_x 1
		.amdhsa_system_sgpr_workgroup_id_y 0
		.amdhsa_system_sgpr_workgroup_id_z 0
		.amdhsa_system_sgpr_workgroup_info 0
		.amdhsa_system_vgpr_workitem_id 0
		.amdhsa_next_free_vgpr 22
		.amdhsa_next_free_sgpr 42
		.amdhsa_accum_offset 24
		.amdhsa_reserve_vcc 1
		.amdhsa_reserve_flat_scratch 0
		.amdhsa_float_round_mode_32 0
		.amdhsa_float_round_mode_16_64 0
		.amdhsa_float_denorm_mode_32 3
		.amdhsa_float_denorm_mode_16_64 3
		.amdhsa_dx10_clamp 1
		.amdhsa_ieee_mode 1
		.amdhsa_fp16_overflow 0
		.amdhsa_tg_split 0
		.amdhsa_exception_fp_ieee_invalid_op 0
		.amdhsa_exception_fp_denorm_src 0
		.amdhsa_exception_fp_ieee_div_zero 0
		.amdhsa_exception_fp_ieee_overflow 0
		.amdhsa_exception_fp_ieee_underflow 0
		.amdhsa_exception_fp_ieee_inexact 0
		.amdhsa_exception_int_div_zero 0
	.end_amdhsa_kernel
	.section	.text._ZN9rocsparseL12csrsv_kernelILj1024ELj64ELb0ElldEEvT3_NS_24const_host_device_scalarIT4_EEPKT2_PKS1_PKS3_SB_lPS3_PiS9_iPS1_21rocsparse_index_base_20rocsparse_fill_mode_20rocsparse_diag_type_b,"axG",@progbits,_ZN9rocsparseL12csrsv_kernelILj1024ELj64ELb0ElldEEvT3_NS_24const_host_device_scalarIT4_EEPKT2_PKS1_PKS3_SB_lPS3_PiS9_iPS1_21rocsparse_index_base_20rocsparse_fill_mode_20rocsparse_diag_type_b,comdat
.Lfunc_end29:
	.size	_ZN9rocsparseL12csrsv_kernelILj1024ELj64ELb0ElldEEvT3_NS_24const_host_device_scalarIT4_EEPKT2_PKS1_PKS3_SB_lPS3_PiS9_iPS1_21rocsparse_index_base_20rocsparse_fill_mode_20rocsparse_diag_type_b, .Lfunc_end29-_ZN9rocsparseL12csrsv_kernelILj1024ELj64ELb0ElldEEvT3_NS_24const_host_device_scalarIT4_EEPKT2_PKS1_PKS3_SB_lPS3_PiS9_iPS1_21rocsparse_index_base_20rocsparse_fill_mode_20rocsparse_diag_type_b
                                        ; -- End function
	.section	.AMDGPU.csdata,"",@progbits
; Kernel info:
; codeLenInByte = 1532
; NumSgprs: 46
; NumVgprs: 22
; NumAgprs: 0
; TotalNumVgprs: 22
; ScratchSize: 0
; MemoryBound: 0
; FloatMode: 240
; IeeeMode: 1
; LDSByteSize: 128 bytes/workgroup (compile time only)
; SGPRBlocks: 5
; VGPRBlocks: 2
; NumSGPRsForWavesPerEU: 46
; NumVGPRsForWavesPerEU: 22
; AccumOffset: 24
; Occupancy: 8
; WaveLimiterHint : 1
; COMPUTE_PGM_RSRC2:SCRATCH_EN: 0
; COMPUTE_PGM_RSRC2:USER_SGPR: 6
; COMPUTE_PGM_RSRC2:TRAP_HANDLER: 0
; COMPUTE_PGM_RSRC2:TGID_X_EN: 1
; COMPUTE_PGM_RSRC2:TGID_Y_EN: 0
; COMPUTE_PGM_RSRC2:TGID_Z_EN: 0
; COMPUTE_PGM_RSRC2:TIDIG_COMP_CNT: 0
; COMPUTE_PGM_RSRC3_GFX90A:ACCUM_OFFSET: 5
; COMPUTE_PGM_RSRC3_GFX90A:TG_SPLIT: 0
	.section	.text._ZN9rocsparseL12csrsv_kernelILj1024ELj64ELb1Ell21rocsparse_complex_numIfEEEvT3_NS_24const_host_device_scalarIT4_EEPKT2_PKS3_PKS5_SD_lPS5_PiSB_iPS3_21rocsparse_index_base_20rocsparse_fill_mode_20rocsparse_diag_type_b,"axG",@progbits,_ZN9rocsparseL12csrsv_kernelILj1024ELj64ELb1Ell21rocsparse_complex_numIfEEEvT3_NS_24const_host_device_scalarIT4_EEPKT2_PKS3_PKS5_SD_lPS5_PiSB_iPS3_21rocsparse_index_base_20rocsparse_fill_mode_20rocsparse_diag_type_b,comdat
	.globl	_ZN9rocsparseL12csrsv_kernelILj1024ELj64ELb1Ell21rocsparse_complex_numIfEEEvT3_NS_24const_host_device_scalarIT4_EEPKT2_PKS3_PKS5_SD_lPS5_PiSB_iPS3_21rocsparse_index_base_20rocsparse_fill_mode_20rocsparse_diag_type_b ; -- Begin function _ZN9rocsparseL12csrsv_kernelILj1024ELj64ELb1Ell21rocsparse_complex_numIfEEEvT3_NS_24const_host_device_scalarIT4_EEPKT2_PKS3_PKS5_SD_lPS5_PiSB_iPS3_21rocsparse_index_base_20rocsparse_fill_mode_20rocsparse_diag_type_b
	.p2align	8
	.type	_ZN9rocsparseL12csrsv_kernelILj1024ELj64ELb1Ell21rocsparse_complex_numIfEEEvT3_NS_24const_host_device_scalarIT4_EEPKT2_PKS3_PKS5_SD_lPS5_PiSB_iPS3_21rocsparse_index_base_20rocsparse_fill_mode_20rocsparse_diag_type_b,@function
_ZN9rocsparseL12csrsv_kernelILj1024ELj64ELb1Ell21rocsparse_complex_numIfEEEvT3_NS_24const_host_device_scalarIT4_EEPKT2_PKS3_PKS5_SD_lPS5_PiSB_iPS3_21rocsparse_index_base_20rocsparse_fill_mode_20rocsparse_diag_type_b: ; @_ZN9rocsparseL12csrsv_kernelILj1024ELj64ELb1Ell21rocsparse_complex_numIfEEEvT3_NS_24const_host_device_scalarIT4_EEPKT2_PKS3_PKS5_SD_lPS5_PiSB_iPS3_21rocsparse_index_base_20rocsparse_fill_mode_20rocsparse_diag_type_b
; %bb.0:
	s_load_dwordx4 s[8:11], s[4:5], 0x60
	s_load_dwordx4 s[0:3], s[4:5], 0x0
	s_waitcnt lgkmcnt(0)
	s_bitcmp1_b32 s11, 0
	s_cselect_b64 s[14:15], -1, 0
	s_xor_b64 s[12:13], s[14:15], -1
	s_and_b64 vcc, exec, s[14:15]
	s_mov_b32 s22, s2
	s_cbranch_vccnz .LBB30_2
; %bb.1:
	s_load_dword s22, s[2:3], 0x0
.LBB30_2:
	s_andn2_b64 vcc, exec, s[12:13]
	s_cbranch_vccnz .LBB30_4
; %bb.3:
	s_load_dword s3, s[2:3], 0x4
.LBB30_4:
	v_lshrrev_b32_e32 v1, 6, v0
	v_mov_b32_e32 v2, s0
	v_readfirstlane_b32 s11, v1
	s_lshl_b32 s0, s6, 4
	v_mov_b32_e32 v3, s1
	s_add_i32 s0, s11, s0
	s_mov_b32 s1, 0
	v_cmp_ge_i64_e32 vcc, s[0:1], v[2:3]
	s_cbranch_vccnz .LBB30_50
; %bb.5:
	s_load_dword s6, s[4:5], 0x50
	s_load_dwordx2 s[12:13], s[4:5], 0x48
	s_lshl_b64 s[14:15], s[0:1], 3
	v_and_b32_e32 v10, 63, v0
	v_cmp_eq_u32_e32 vcc, 0, v10
	s_waitcnt lgkmcnt(0)
	s_ashr_i32 s7, s6, 31
	s_add_u32 s0, s12, s14
	s_addc_u32 s2, s13, s15
	s_lshl_b64 s[6:7], s[6:7], 3
	s_add_u32 s16, s0, s6
	s_addc_u32 s17, s2, s7
	s_load_dwordx2 s[6:7], s[16:17], 0x0
	s_load_dwordx2 s[18:19], s[4:5], 0x10
	s_load_dwordx4 s[12:15], s[4:5], 0x38
	s_mov_b32 s0, s1
	v_pk_mov_b32 v[2:3], s[0:1], s[0:1] op_sel:[0,1]
	s_waitcnt lgkmcnt(0)
	s_lshl_b64 s[20:21], s[6:7], 3
	s_add_u32 s16, s18, s20
	s_addc_u32 s17, s19, s21
	s_load_dwordx4 s[16:19], s[16:17], 0x0
	s_and_saveexec_b64 s[0:1], vcc
	s_cbranch_execz .LBB30_7
; %bb.6:
	s_load_dwordx4 s[24:27], s[4:5], 0x28
	v_mov_b32_e32 v1, s22
	s_waitcnt lgkmcnt(0)
	s_mul_i32 s2, s6, s27
	s_mul_hi_u32 s23, s6, s26
	s_mul_i32 s27, s7, s26
	s_add_i32 s2, s23, s2
	s_mul_i32 s26, s6, s26
	s_add_i32 s27, s2, s27
	s_lshl_b64 s[26:27], s[26:27], 3
	s_add_u32 s24, s24, s26
	s_addc_u32 s25, s25, s27
	s_load_dwordx2 s[24:25], s[24:25], 0x0
	s_xor_b32 s2, s3, 0x80000000
	v_mov_b32_e32 v0, s2
	s_mov_b32 s23, s3
	s_waitcnt lgkmcnt(0)
	v_pk_mul_f32 v[0:1], s[24:25], v[0:1] op_sel:[1,0]
	v_pk_mov_b32 v[2:3], s[24:25], s[24:25] op_sel:[0,1]
	v_pk_fma_f32 v[2:3], s[22:23], v[2:3], v[0:1] op_sel_hi:[1,0,1]
.LBB30_7:
	s_or_b64 exec, exec, s[0:1]
	v_subrev_co_u32_e32 v0, vcc, s8, v10
	s_waitcnt lgkmcnt(0)
	s_sub_u32 s22, s18, s8
	v_subb_co_u32_e64 v1, s[2:3], 0, 0, vcc
	v_mov_b32_e32 v4, s17
	v_add_co_u32_e32 v0, vcc, s16, v0
	s_subb_u32 s23, s19, 0
	v_addc_co_u32_e32 v1, vcc, v4, v1, vcc
	s_mov_b32 s0, 0
	v_cmp_gt_i64_e32 vcc, s[22:23], v[0:1]
	s_and_saveexec_b64 s[24:25], vcc
	s_cbranch_execz .LBB30_47
; %bb.8:
	s_load_dwordx2 s[26:27], s[4:5], 0x58
	s_load_dwordx4 s[16:19], s[4:5], 0x18
	s_cmp_eq_u32 s10, 0
	s_cselect_b64 s[28:29], -1, 0
	s_add_u32 s30, s6, s8
	v_cndmask_b32_e64 v4, 0, 1, s[28:29]
	s_mov_b32 s33, s8
	s_addc_u32 s31, s7, 0
	s_lshl_b32 s8, s11, 3
	s_mov_b64 s[34:35], 0
	s_waitcnt lgkmcnt(0)
	v_mov_b32_e32 v11, s17
	v_mov_b32_e32 v12, s0
	;; [unrolled: 1-line block ×4, first 2 shown]
	v_cmp_ne_u32_e64 s[0:1], 1, v4
	s_branch .LBB30_10
.LBB30_9:                               ;   in Loop: Header=BB30_10 Depth=1
	s_or_b64 exec, exec, s[36:37]
	s_and_b64 s[2:3], exec, s[2:3]
	s_or_b64 s[34:35], s[2:3], s[34:35]
	v_pk_mov_b32 v[2:3], v[8:9], v[8:9] op_sel:[0,1]
	s_andn2_b64 exec, exec, s[34:35]
	s_cbranch_execz .LBB30_46
.LBB30_10:                              ; =>This Loop Header: Depth=1
                                        ;     Child Loop BB30_36 Depth 2
                                        ;       Child Loop BB30_37 Depth 3
	v_lshlrev_b64 v[4:5], 3, v[0:1]
	v_add_co_u32_e32 v6, vcc, s16, v4
	v_addc_co_u32_e32 v7, vcc, v11, v5, vcc
	global_load_dwordx2 v[6:7], v[6:7], off glc slc
	v_add_co_u32_e32 v4, vcc, s18, v4
	v_addc_co_u32_e32 v5, vcc, v13, v5, vcc
	global_load_dwordx2 v[4:5], v[4:5], off glc slc
	s_waitcnt vmcnt(1)
	v_subrev_co_u32_e32 v6, vcc, s33, v6
	v_subb_co_u32_e32 v7, vcc, v7, v12, vcc
	s_waitcnt vmcnt(0)
	v_cmp_eq_f32_e32 vcc, 0, v4
	v_cmp_eq_f32_e64 s[2:3], 0, v5
	s_and_b64 s[2:3], vcc, s[2:3]
	v_cmp_eq_u64_e32 vcc, s[6:7], v[6:7]
	s_and_b64 s[2:3], s[2:3], vcc
	s_and_b64 s[2:3], s[28:29], s[2:3]
	s_and_saveexec_b64 s[4:5], s[2:3]
	s_cbranch_execz .LBB30_14
; %bb.11:                               ;   in Loop: Header=BB30_10 Depth=1
	v_mbcnt_lo_u32_b32 v4, exec_lo, 0
	v_mbcnt_hi_u32_b32 v4, exec_hi, v4
	v_cmp_eq_u32_e64 s[2:3], 0, v4
	s_and_saveexec_b64 s[36:37], s[2:3]
	s_cbranch_execz .LBB30_13
; %bb.12:                               ;   in Loop: Header=BB30_10 Depth=1
	v_pk_mov_b32 v[4:5], s[30:31], s[30:31] op_sel:[0,1]
	global_atomic_umin_x2 v14, v[4:5], s[26:27]
.LBB30_13:                              ;   in Loop: Header=BB30_10 Depth=1
	s_or_b64 exec, exec, s[36:37]
	v_mov_b32_e32 v4, 1.0
	v_mov_b32_e32 v5, 0
.LBB30_14:                              ;   in Loop: Header=BB30_10 Depth=1
	s_or_b64 exec, exec, s[4:5]
	v_cmp_ne_u64_e64 s[2:3], s[6:7], v[6:7]
	s_cmp_lt_i32 s9, 1
	s_mov_b64 s[36:37], 0
	s_cbranch_scc1 .LBB30_23
; %bb.15:                               ;   in Loop: Header=BB30_10 Depth=1
	s_cmp_eq_u32 s9, 1
	s_cbranch_scc0 .LBB30_24
; %bb.16:                               ;   in Loop: Header=BB30_10 Depth=1
	v_cmp_le_i64_e64 s[4:5], s[6:7], v[6:7]
	s_mov_b64 s[38:39], 0
	s_and_saveexec_b64 s[40:41], s[4:5]
	s_cbranch_execz .LBB30_22
; %bb.17:                               ;   in Loop: Header=BB30_10 Depth=1
	s_mov_b64 s[38:39], -1
	s_and_saveexec_b64 s[4:5], vcc
	s_xor_b64 s[4:5], exec, s[4:5]
	s_cbranch_execz .LBB30_21
; %bb.18:                               ;   in Loop: Header=BB30_10 Depth=1
	s_and_b64 vcc, exec, s[0:1]
	s_cbranch_vccnz .LBB30_20
; %bb.19:                               ;   in Loop: Header=BB30_10 Depth=1
	v_mul_f32_e32 v8, v5, v5
	v_fmac_f32_e32 v8, v4, v4
	v_div_scale_f32 v9, s[38:39], v8, v8, 1.0
	v_rcp_f32_e32 v15, v9
	v_div_scale_f32 v16, vcc, 1.0, v8, 1.0
	v_fma_f32 v17, -v9, v15, 1.0
	v_fmac_f32_e32 v15, v17, v15
	v_mul_f32_e32 v17, v16, v15
	v_fma_f32 v18, -v9, v17, v16
	v_fmac_f32_e32 v17, v18, v15
	v_fma_f32 v9, -v9, v17, v16
	v_div_fmas_f32 v9, v9, v15, v17
	v_div_fixup_f32 v8, v9, v8, 1.0
	v_fma_f32 v16, 0, v5, v4
	v_fma_f32 v17, v4, 0, -v5
	v_pk_mul_f32 v[8:9], v[16:17], v[8:9] op_sel_hi:[1,0]
	v_mov_b32_e32 v15, s8
	ds_write_b64 v15, v[8:9]
.LBB30_20:                              ;   in Loop: Header=BB30_10 Depth=1
	s_xor_b64 s[38:39], exec, -1
.LBB30_21:                              ;   in Loop: Header=BB30_10 Depth=1
	s_or_b64 exec, exec, s[4:5]
	s_and_b64 s[38:39], s[38:39], exec
.LBB30_22:                              ;   in Loop: Header=BB30_10 Depth=1
	s_or_b64 exec, exec, s[40:41]
	s_mov_b32 s17, 4
	v_pk_mov_b32 v[8:9], v[2:3], v[2:3] op_sel:[0,1]
	s_branch .LBB30_25
.LBB30_23:                              ;   in Loop: Header=BB30_10 Depth=1
	s_mov_b64 s[38:39], 0
                                        ; implicit-def: $vgpr8_vgpr9
                                        ; implicit-def: $sgpr17
	s_cbranch_execnz .LBB30_26
	s_branch .LBB30_28
.LBB30_24:                              ;   in Loop: Header=BB30_10 Depth=1
	s_mov_b64 s[38:39], -1
                                        ; implicit-def: $vgpr8_vgpr9
                                        ; implicit-def: $sgpr17
.LBB30_25:                              ;   in Loop: Header=BB30_10 Depth=1
	s_branch .LBB30_28
.LBB30_26:                              ;   in Loop: Header=BB30_10 Depth=1
	s_cmp_eq_u32 s9, 0
	s_cbranch_scc1 .LBB30_30
; %bb.27:                               ;   in Loop: Header=BB30_10 Depth=1
	s_mov_b64 s[38:39], -1
                                        ; implicit-def: $vgpr8_vgpr9
                                        ; implicit-def: $sgpr17
.LBB30_28:                              ;   in Loop: Header=BB30_10 Depth=1
	v_mov_b32_e32 v15, s17
	s_and_saveexec_b64 s[2:3], s[38:39]
	s_cbranch_execnz .LBB30_33
.LBB30_29:                              ;   in Loop: Header=BB30_10 Depth=1
	s_or_b64 exec, exec, s[2:3]
	s_and_saveexec_b64 s[2:3], s[36:37]
	s_cbranch_execnz .LBB30_39
	s_branch .LBB30_42
.LBB30_30:                              ;   in Loop: Header=BB30_10 Depth=1
	v_cmp_ge_i64_e32 vcc, s[6:7], v[6:7]
	s_mov_b64 s[38:39], 0
	s_and_saveexec_b64 s[4:5], vcc
; %bb.31:                               ;   in Loop: Header=BB30_10 Depth=1
	s_mov_b64 s[36:37], exec
	s_and_b64 s[38:39], s[2:3], exec
; %bb.32:                               ;   in Loop: Header=BB30_10 Depth=1
	s_or_b64 exec, exec, s[4:5]
	s_mov_b32 s17, 2
	v_pk_mov_b32 v[8:9], v[2:3], v[2:3] op_sel:[0,1]
	v_mov_b32_e32 v15, s17
	s_and_saveexec_b64 s[2:3], s[38:39]
	s_cbranch_execz .LBB30_29
.LBB30_33:                              ;   in Loop: Header=BB30_10 Depth=1
	v_lshlrev_b64 v[8:9], 2, v[6:7]
	v_mov_b32_e32 v15, s15
	v_add_co_u32_e32 v8, vcc, s14, v8
	v_addc_co_u32_e32 v9, vcc, v15, v9, vcc
	global_load_dword v15, v[8:9], off glc
	s_waitcnt vmcnt(0)
	v_cmp_eq_u32_e32 vcc, 0, v15
	s_and_saveexec_b64 s[4:5], vcc
	s_cbranch_execz .LBB30_38
; %bb.34:                               ;   in Loop: Header=BB30_10 Depth=1
	s_mov_b32 s17, 0
	s_mov_b64 s[38:39], 0
	s_branch .LBB30_36
.LBB30_35:                              ;   in Loop: Header=BB30_36 Depth=2
	global_load_dword v15, v[8:9], off glc
	s_cmpk_lt_u32 s17, 0xf43
	s_cselect_b64 s[40:41], -1, 0
	s_cmp_lg_u64 s[40:41], 0
	s_addc_u32 s17, s17, 0
	s_waitcnt vmcnt(0)
	v_cmp_ne_u32_e32 vcc, 0, v15
	s_or_b64 s[38:39], vcc, s[38:39]
	s_andn2_b64 exec, exec, s[38:39]
	s_cbranch_execz .LBB30_38
.LBB30_36:                              ;   Parent Loop BB30_10 Depth=1
                                        ; =>  This Loop Header: Depth=2
                                        ;       Child Loop BB30_37 Depth 3
	s_cmp_eq_u32 s17, 0
	s_mov_b32 s19, s17
	s_cbranch_scc1 .LBB30_35
.LBB30_37:                              ;   Parent Loop BB30_10 Depth=1
                                        ;     Parent Loop BB30_36 Depth=2
                                        ; =>    This Inner Loop Header: Depth=3
	s_add_i32 s19, s19, -1
	s_cmp_eq_u32 s19, 0
	s_sleep 1
	s_cbranch_scc0 .LBB30_37
	s_branch .LBB30_35
.LBB30_38:                              ;   in Loop: Header=BB30_10 Depth=1
	s_or_b64 exec, exec, s[4:5]
	v_lshlrev_b64 v[6:7], 3, v[6:7]
	v_mov_b32_e32 v8, s13
	v_add_co_u32_e32 v6, vcc, s12, v6
	v_addc_co_u32_e32 v7, vcc, v8, v7, vcc
	s_waitcnt lgkmcnt(0)
	buffer_wbinvl1_vol
	global_load_dwordx2 v[6:7], v[6:7], off
	v_mov_b32_e32 v15, 0
	s_andn2_b64 s[36:37], s[36:37], exec
	s_waitcnt vmcnt(0)
	v_pk_fma_f32 v[8:9], v[4:5], v[6:7], v[2:3] op_sel_hi:[1,0,1] neg_lo:[1,0,0] neg_hi:[1,0,0]
	v_pk_fma_f32 v[8:9], v[4:5], v[6:7], v[8:9] op_sel:[1,1,0] op_sel_hi:[0,1,1] neg_hi:[1,0,0]
	s_or_b64 exec, exec, s[2:3]
	s_and_saveexec_b64 s[2:3], s[36:37]
	s_cbranch_execz .LBB30_42
.LBB30_39:                              ;   in Loop: Header=BB30_10 Depth=1
	s_and_b64 vcc, exec, s[0:1]
	s_cbranch_vccnz .LBB30_41
; %bb.40:                               ;   in Loop: Header=BB30_10 Depth=1
	v_mul_f32_e32 v6, v5, v5
	v_fmac_f32_e32 v6, v4, v4
	v_div_scale_f32 v7, s[4:5], v6, v6, 1.0
	v_rcp_f32_e32 v8, v7
	v_div_scale_f32 v9, vcc, 1.0, v6, 1.0
	v_fma_f32 v15, -v7, v8, 1.0
	v_fmac_f32_e32 v8, v15, v8
	v_mul_f32_e32 v15, v9, v8
	v_fma_f32 v16, -v7, v15, v9
	v_fmac_f32_e32 v15, v16, v8
	v_fma_f32 v7, -v7, v15, v9
	v_div_fmas_f32 v7, v7, v8, v15
	v_div_fixup_f32 v6, v7, v6, 1.0
	v_fma_f32 v8, 0, v5, v4
	v_fma_f32 v9, v4, 0, -v5
	v_pk_mul_f32 v[4:5], v[8:9], v[6:7] op_sel_hi:[1,0]
	v_mov_b32_e32 v6, s8
	ds_write_b64 v6, v[4:5]
.LBB30_41:                              ;   in Loop: Header=BB30_10 Depth=1
	v_mov_b32_e32 v15, 2
	v_pk_mov_b32 v[8:9], v[2:3], v[2:3] op_sel:[0,1]
.LBB30_42:                              ;   in Loop: Header=BB30_10 Depth=1
	s_or_b64 exec, exec, s[2:3]
	v_cmp_gt_i32_e32 vcc, 4, v15
	s_mov_b64 s[2:3], -1
	s_mov_b64 s[4:5], -1
	s_and_saveexec_b64 s[36:37], vcc
; %bb.43:                               ;   in Loop: Header=BB30_10 Depth=1
	v_cmp_eq_u32_e32 vcc, 0, v15
	s_orn2_b64 s[4:5], vcc, exec
; %bb.44:                               ;   in Loop: Header=BB30_10 Depth=1
	s_or_b64 exec, exec, s[36:37]
	s_and_saveexec_b64 s[36:37], s[4:5]
	s_cbranch_execz .LBB30_9
; %bb.45:                               ;   in Loop: Header=BB30_10 Depth=1
	v_add_co_u32_e32 v0, vcc, 64, v0
	v_addc_co_u32_e32 v1, vcc, 0, v1, vcc
	v_cmp_le_i64_e32 vcc, s[22:23], v[0:1]
	s_orn2_b64 s[2:3], vcc, exec
	s_branch .LBB30_9
.LBB30_46:
	s_or_b64 exec, exec, s[34:35]
	v_pk_mov_b32 v[2:3], v[8:9], v[8:9] op_sel:[0,1]
.LBB30_47:
	s_or_b64 exec, exec, s[24:25]
	s_nop 0
	v_mov_b32_dpp v0, v2 row_shr:1 row_mask:0xf bank_mask:0xf
	v_mov_b32_dpp v1, v3 row_shr:1 row_mask:0xf bank_mask:0xf
	v_pk_add_f32 v[0:1], v[2:3], v[0:1]
	s_cmp_lg_u32 s10, 0
	s_nop 0
	v_mov_b32_dpp v2, v0 row_shr:2 row_mask:0xf bank_mask:0xf
	v_mov_b32_dpp v3, v1 row_shr:2 row_mask:0xf bank_mask:0xf
	v_pk_add_f32 v[0:1], v[0:1], v[2:3]
	s_nop 1
	v_mov_b32_dpp v2, v0 row_shr:4 row_mask:0xf bank_mask:0xe
	v_mov_b32_dpp v3, v1 row_shr:4 row_mask:0xf bank_mask:0xe
	v_pk_add_f32 v[0:1], v[0:1], v[2:3]
	;; [unrolled: 4-line block ×3, first 2 shown]
	s_nop 1
	v_mov_b32_dpp v2, v0 row_bcast:15 row_mask:0xa bank_mask:0xf
	v_mov_b32_dpp v3, v1 row_bcast:15 row_mask:0xa bank_mask:0xf
	v_pk_add_f32 v[0:1], v[0:1], v[2:3]
	s_nop 1
	v_mov_b32_dpp v2, v0 row_bcast:31 row_mask:0xc bank_mask:0xf
	v_mov_b32_dpp v3, v1 row_bcast:31 row_mask:0xc bank_mask:0xf
	v_pk_add_f32 v[0:1], v[0:1], v[2:3]
	s_cbranch_scc0 .LBB30_51
; %bb.48:
	v_cmp_eq_u32_e32 vcc, 63, v10
	s_and_saveexec_b64 s[0:1], vcc
	s_cbranch_execz .LBB30_50
.LBB30_49:
	s_add_u32 s0, s12, s20
	s_addc_u32 s1, s13, s21
	s_lshl_b64 s[2:3], s[6:7], 2
	v_mov_b32_e32 v2, 0
	s_add_u32 s2, s14, s2
	s_addc_u32 s3, s15, s3
	global_store_dwordx2 v2, v[0:1], s[0:1] glc slc
	v_mov_b32_e32 v0, 1
	s_waitcnt vmcnt(0)
	global_store_dword v2, v0, s[2:3]
.LBB30_50:
	s_endpgm
.LBB30_51:
	s_lshl_b32 s0, s11, 3
	v_mov_b32_e32 v2, s0
	s_waitcnt lgkmcnt(0)
	ds_read_b64 v[2:3], v2
	s_waitcnt lgkmcnt(0)
	v_pk_mul_f32 v[4:5], v[2:3], v[0:1] op_sel:[1,1] op_sel_hi:[1,0] neg_lo:[0,1]
	v_pk_fma_f32 v[0:1], v[0:1], v[2:3], v[4:5] op_sel_hi:[1,0,1]
	v_cmp_eq_u32_e32 vcc, 63, v10
	s_and_saveexec_b64 s[0:1], vcc
	s_cbranch_execnz .LBB30_49
	s_branch .LBB30_50
	.section	.rodata,"a",@progbits
	.p2align	6, 0x0
	.amdhsa_kernel _ZN9rocsparseL12csrsv_kernelILj1024ELj64ELb1Ell21rocsparse_complex_numIfEEEvT3_NS_24const_host_device_scalarIT4_EEPKT2_PKS3_PKS5_SD_lPS5_PiSB_iPS3_21rocsparse_index_base_20rocsparse_fill_mode_20rocsparse_diag_type_b
		.amdhsa_group_segment_fixed_size 128
		.amdhsa_private_segment_fixed_size 0
		.amdhsa_kernarg_size 112
		.amdhsa_user_sgpr_count 6
		.amdhsa_user_sgpr_private_segment_buffer 1
		.amdhsa_user_sgpr_dispatch_ptr 0
		.amdhsa_user_sgpr_queue_ptr 0
		.amdhsa_user_sgpr_kernarg_segment_ptr 1
		.amdhsa_user_sgpr_dispatch_id 0
		.amdhsa_user_sgpr_flat_scratch_init 0
		.amdhsa_user_sgpr_kernarg_preload_length 0
		.amdhsa_user_sgpr_kernarg_preload_offset 0
		.amdhsa_user_sgpr_private_segment_size 0
		.amdhsa_uses_dynamic_stack 0
		.amdhsa_system_sgpr_private_segment_wavefront_offset 0
		.amdhsa_system_sgpr_workgroup_id_x 1
		.amdhsa_system_sgpr_workgroup_id_y 0
		.amdhsa_system_sgpr_workgroup_id_z 0
		.amdhsa_system_sgpr_workgroup_info 0
		.amdhsa_system_vgpr_workitem_id 0
		.amdhsa_next_free_vgpr 19
		.amdhsa_next_free_sgpr 42
		.amdhsa_accum_offset 20
		.amdhsa_reserve_vcc 1
		.amdhsa_reserve_flat_scratch 0
		.amdhsa_float_round_mode_32 0
		.amdhsa_float_round_mode_16_64 0
		.amdhsa_float_denorm_mode_32 3
		.amdhsa_float_denorm_mode_16_64 3
		.amdhsa_dx10_clamp 1
		.amdhsa_ieee_mode 1
		.amdhsa_fp16_overflow 0
		.amdhsa_tg_split 0
		.amdhsa_exception_fp_ieee_invalid_op 0
		.amdhsa_exception_fp_denorm_src 0
		.amdhsa_exception_fp_ieee_div_zero 0
		.amdhsa_exception_fp_ieee_overflow 0
		.amdhsa_exception_fp_ieee_underflow 0
		.amdhsa_exception_fp_ieee_inexact 0
		.amdhsa_exception_int_div_zero 0
	.end_amdhsa_kernel
	.section	.text._ZN9rocsparseL12csrsv_kernelILj1024ELj64ELb1Ell21rocsparse_complex_numIfEEEvT3_NS_24const_host_device_scalarIT4_EEPKT2_PKS3_PKS5_SD_lPS5_PiSB_iPS3_21rocsparse_index_base_20rocsparse_fill_mode_20rocsparse_diag_type_b,"axG",@progbits,_ZN9rocsparseL12csrsv_kernelILj1024ELj64ELb1Ell21rocsparse_complex_numIfEEEvT3_NS_24const_host_device_scalarIT4_EEPKT2_PKS3_PKS5_SD_lPS5_PiSB_iPS3_21rocsparse_index_base_20rocsparse_fill_mode_20rocsparse_diag_type_b,comdat
.Lfunc_end30:
	.size	_ZN9rocsparseL12csrsv_kernelILj1024ELj64ELb1Ell21rocsparse_complex_numIfEEEvT3_NS_24const_host_device_scalarIT4_EEPKT2_PKS3_PKS5_SD_lPS5_PiSB_iPS3_21rocsparse_index_base_20rocsparse_fill_mode_20rocsparse_diag_type_b, .Lfunc_end30-_ZN9rocsparseL12csrsv_kernelILj1024ELj64ELb1Ell21rocsparse_complex_numIfEEEvT3_NS_24const_host_device_scalarIT4_EEPKT2_PKS3_PKS5_SD_lPS5_PiSB_iPS3_21rocsparse_index_base_20rocsparse_fill_mode_20rocsparse_diag_type_b
                                        ; -- End function
	.section	.AMDGPU.csdata,"",@progbits
; Kernel info:
; codeLenInByte = 1708
; NumSgprs: 46
; NumVgprs: 19
; NumAgprs: 0
; TotalNumVgprs: 19
; ScratchSize: 0
; MemoryBound: 0
; FloatMode: 240
; IeeeMode: 1
; LDSByteSize: 128 bytes/workgroup (compile time only)
; SGPRBlocks: 5
; VGPRBlocks: 2
; NumSGPRsForWavesPerEU: 46
; NumVGPRsForWavesPerEU: 19
; AccumOffset: 20
; Occupancy: 8
; WaveLimiterHint : 1
; COMPUTE_PGM_RSRC2:SCRATCH_EN: 0
; COMPUTE_PGM_RSRC2:USER_SGPR: 6
; COMPUTE_PGM_RSRC2:TRAP_HANDLER: 0
; COMPUTE_PGM_RSRC2:TGID_X_EN: 1
; COMPUTE_PGM_RSRC2:TGID_Y_EN: 0
; COMPUTE_PGM_RSRC2:TGID_Z_EN: 0
; COMPUTE_PGM_RSRC2:TIDIG_COMP_CNT: 0
; COMPUTE_PGM_RSRC3_GFX90A:ACCUM_OFFSET: 4
; COMPUTE_PGM_RSRC3_GFX90A:TG_SPLIT: 0
	.section	.text._ZN9rocsparseL12csrsv_kernelILj1024ELj32ELb0Ell21rocsparse_complex_numIfEEEvT3_NS_24const_host_device_scalarIT4_EEPKT2_PKS3_PKS5_SD_lPS5_PiSB_iPS3_21rocsparse_index_base_20rocsparse_fill_mode_20rocsparse_diag_type_b,"axG",@progbits,_ZN9rocsparseL12csrsv_kernelILj1024ELj32ELb0Ell21rocsparse_complex_numIfEEEvT3_NS_24const_host_device_scalarIT4_EEPKT2_PKS3_PKS5_SD_lPS5_PiSB_iPS3_21rocsparse_index_base_20rocsparse_fill_mode_20rocsparse_diag_type_b,comdat
	.globl	_ZN9rocsparseL12csrsv_kernelILj1024ELj32ELb0Ell21rocsparse_complex_numIfEEEvT3_NS_24const_host_device_scalarIT4_EEPKT2_PKS3_PKS5_SD_lPS5_PiSB_iPS3_21rocsparse_index_base_20rocsparse_fill_mode_20rocsparse_diag_type_b ; -- Begin function _ZN9rocsparseL12csrsv_kernelILj1024ELj32ELb0Ell21rocsparse_complex_numIfEEEvT3_NS_24const_host_device_scalarIT4_EEPKT2_PKS3_PKS5_SD_lPS5_PiSB_iPS3_21rocsparse_index_base_20rocsparse_fill_mode_20rocsparse_diag_type_b
	.p2align	8
	.type	_ZN9rocsparseL12csrsv_kernelILj1024ELj32ELb0Ell21rocsparse_complex_numIfEEEvT3_NS_24const_host_device_scalarIT4_EEPKT2_PKS3_PKS5_SD_lPS5_PiSB_iPS3_21rocsparse_index_base_20rocsparse_fill_mode_20rocsparse_diag_type_b,@function
_ZN9rocsparseL12csrsv_kernelILj1024ELj32ELb0Ell21rocsparse_complex_numIfEEEvT3_NS_24const_host_device_scalarIT4_EEPKT2_PKS3_PKS5_SD_lPS5_PiSB_iPS3_21rocsparse_index_base_20rocsparse_fill_mode_20rocsparse_diag_type_b: ; @_ZN9rocsparseL12csrsv_kernelILj1024ELj32ELb0Ell21rocsparse_complex_numIfEEEvT3_NS_24const_host_device_scalarIT4_EEPKT2_PKS3_PKS5_SD_lPS5_PiSB_iPS3_21rocsparse_index_base_20rocsparse_fill_mode_20rocsparse_diag_type_b
; %bb.0:
	s_load_dwordx4 s[8:11], s[4:5], 0x60
	s_load_dwordx4 s[0:3], s[4:5], 0x0
	s_waitcnt lgkmcnt(0)
	s_bitcmp1_b32 s11, 0
	s_cselect_b64 s[14:15], -1, 0
	s_xor_b64 s[12:13], s[14:15], -1
	s_and_b64 vcc, exec, s[14:15]
	s_mov_b32 s22, s2
	s_cbranch_vccnz .LBB31_2
; %bb.1:
	s_load_dword s22, s[2:3], 0x0
.LBB31_2:
	s_andn2_b64 vcc, exec, s[12:13]
	s_cbranch_vccnz .LBB31_4
; %bb.3:
	s_load_dword s3, s[2:3], 0x4
.LBB31_4:
	v_lshrrev_b32_e32 v1, 5, v0
	v_mov_b32_e32 v2, s0
	v_readfirstlane_b32 s11, v1
	s_lshl_b32 s0, s6, 5
	v_mov_b32_e32 v3, s1
	s_add_i32 s0, s11, s0
	s_mov_b32 s1, 0
	v_cmp_ge_i64_e32 vcc, s[0:1], v[2:3]
	s_cbranch_vccnz .LBB31_48
; %bb.5:
	s_load_dword s6, s[4:5], 0x50
	s_load_dwordx2 s[12:13], s[4:5], 0x48
	s_lshl_b64 s[14:15], s[0:1], 3
	v_and_b32_e32 v10, 31, v0
	v_cmp_eq_u32_e32 vcc, 0, v10
	s_waitcnt lgkmcnt(0)
	s_ashr_i32 s7, s6, 31
	s_add_u32 s0, s12, s14
	s_addc_u32 s2, s13, s15
	s_lshl_b64 s[6:7], s[6:7], 3
	s_add_u32 s16, s0, s6
	s_addc_u32 s17, s2, s7
	s_load_dwordx2 s[6:7], s[16:17], 0x0
	s_load_dwordx2 s[18:19], s[4:5], 0x10
	s_load_dwordx4 s[12:15], s[4:5], 0x38
	s_mov_b32 s0, s1
	v_pk_mov_b32 v[2:3], s[0:1], s[0:1] op_sel:[0,1]
	s_waitcnt lgkmcnt(0)
	s_lshl_b64 s[20:21], s[6:7], 3
	s_add_u32 s16, s18, s20
	s_addc_u32 s17, s19, s21
	s_load_dwordx4 s[16:19], s[16:17], 0x0
	s_and_saveexec_b64 s[0:1], vcc
	s_cbranch_execz .LBB31_7
; %bb.6:
	s_load_dwordx4 s[24:27], s[4:5], 0x28
	v_mov_b32_e32 v1, s22
	s_waitcnt lgkmcnt(0)
	s_mul_i32 s2, s6, s27
	s_mul_hi_u32 s23, s6, s26
	s_mul_i32 s27, s7, s26
	s_add_i32 s2, s23, s2
	s_mul_i32 s26, s6, s26
	s_add_i32 s27, s2, s27
	s_lshl_b64 s[26:27], s[26:27], 3
	s_add_u32 s24, s24, s26
	s_addc_u32 s25, s25, s27
	s_load_dwordx2 s[24:25], s[24:25], 0x0
	s_xor_b32 s2, s3, 0x80000000
	v_mov_b32_e32 v0, s2
	s_mov_b32 s23, s3
	s_waitcnt lgkmcnt(0)
	v_pk_mul_f32 v[0:1], s[24:25], v[0:1] op_sel:[1,0]
	v_pk_mov_b32 v[2:3], s[24:25], s[24:25] op_sel:[0,1]
	v_pk_fma_f32 v[2:3], s[22:23], v[2:3], v[0:1] op_sel_hi:[1,0,1]
.LBB31_7:
	s_or_b64 exec, exec, s[0:1]
	v_subrev_co_u32_e32 v0, vcc, s8, v10
	s_waitcnt lgkmcnt(0)
	s_sub_u32 s22, s18, s8
	v_subb_co_u32_e64 v1, s[2:3], 0, 0, vcc
	v_mov_b32_e32 v4, s17
	v_add_co_u32_e32 v0, vcc, s16, v0
	s_subb_u32 s23, s19, 0
	v_addc_co_u32_e32 v1, vcc, v4, v1, vcc
	s_mov_b32 s0, 0
	v_cmp_gt_i64_e32 vcc, s[22:23], v[0:1]
	s_and_saveexec_b64 s[24:25], vcc
	s_cbranch_execz .LBB31_45
; %bb.8:
	s_load_dwordx2 s[26:27], s[4:5], 0x58
	s_load_dwordx4 s[16:19], s[4:5], 0x18
	s_cmp_eq_u32 s10, 0
	s_cselect_b64 s[28:29], -1, 0
	s_add_u32 s30, s6, s8
	v_cndmask_b32_e64 v4, 0, 1, s[28:29]
	s_mov_b32 s33, s8
	s_addc_u32 s31, s7, 0
	s_lshl_b32 s8, s11, 3
	s_mov_b64 s[34:35], 0
	s_waitcnt lgkmcnt(0)
	v_mov_b32_e32 v11, s17
	v_mov_b32_e32 v12, s0
	;; [unrolled: 1-line block ×4, first 2 shown]
	v_cmp_ne_u32_e64 s[0:1], 1, v4
	s_branch .LBB31_10
.LBB31_9:                               ;   in Loop: Header=BB31_10 Depth=1
	s_or_b64 exec, exec, s[36:37]
	s_and_b64 s[2:3], exec, s[2:3]
	s_or_b64 s[34:35], s[2:3], s[34:35]
	v_pk_mov_b32 v[2:3], v[8:9], v[8:9] op_sel:[0,1]
	s_andn2_b64 exec, exec, s[34:35]
	s_cbranch_execz .LBB31_44
.LBB31_10:                              ; =>This Loop Header: Depth=1
                                        ;     Child Loop BB31_35 Depth 2
	v_lshlrev_b64 v[4:5], 3, v[0:1]
	v_add_co_u32_e32 v6, vcc, s16, v4
	v_addc_co_u32_e32 v7, vcc, v11, v5, vcc
	global_load_dwordx2 v[6:7], v[6:7], off glc slc
	v_add_co_u32_e32 v4, vcc, s18, v4
	v_addc_co_u32_e32 v5, vcc, v13, v5, vcc
	global_load_dwordx2 v[4:5], v[4:5], off glc slc
	s_waitcnt vmcnt(1)
	v_subrev_co_u32_e32 v6, vcc, s33, v6
	v_subb_co_u32_e32 v7, vcc, v7, v12, vcc
	s_waitcnt vmcnt(0)
	v_cmp_eq_f32_e32 vcc, 0, v4
	v_cmp_eq_f32_e64 s[2:3], 0, v5
	s_and_b64 s[2:3], vcc, s[2:3]
	v_cmp_eq_u64_e32 vcc, s[6:7], v[6:7]
	s_and_b64 s[2:3], s[2:3], vcc
	s_and_b64 s[2:3], s[28:29], s[2:3]
	s_and_saveexec_b64 s[4:5], s[2:3]
	s_cbranch_execz .LBB31_14
; %bb.11:                               ;   in Loop: Header=BB31_10 Depth=1
	v_mbcnt_lo_u32_b32 v4, exec_lo, 0
	v_mbcnt_hi_u32_b32 v4, exec_hi, v4
	v_cmp_eq_u32_e64 s[2:3], 0, v4
	s_and_saveexec_b64 s[36:37], s[2:3]
	s_cbranch_execz .LBB31_13
; %bb.12:                               ;   in Loop: Header=BB31_10 Depth=1
	v_pk_mov_b32 v[4:5], s[30:31], s[30:31] op_sel:[0,1]
	global_atomic_umin_x2 v14, v[4:5], s[26:27]
.LBB31_13:                              ;   in Loop: Header=BB31_10 Depth=1
	s_or_b64 exec, exec, s[36:37]
	v_mov_b32_e32 v4, 1.0
	v_mov_b32_e32 v5, 0
.LBB31_14:                              ;   in Loop: Header=BB31_10 Depth=1
	s_or_b64 exec, exec, s[4:5]
	v_cmp_ne_u64_e64 s[2:3], s[6:7], v[6:7]
	s_cmp_lt_i32 s9, 1
	s_mov_b64 s[36:37], 0
	s_cbranch_scc1 .LBB31_23
; %bb.15:                               ;   in Loop: Header=BB31_10 Depth=1
	s_cmp_eq_u32 s9, 1
	s_cbranch_scc0 .LBB31_24
; %bb.16:                               ;   in Loop: Header=BB31_10 Depth=1
	v_cmp_le_i64_e64 s[4:5], s[6:7], v[6:7]
	s_mov_b64 s[38:39], 0
	s_and_saveexec_b64 s[40:41], s[4:5]
	s_cbranch_execz .LBB31_22
; %bb.17:                               ;   in Loop: Header=BB31_10 Depth=1
	s_mov_b64 s[38:39], -1
	s_and_saveexec_b64 s[4:5], vcc
	s_xor_b64 s[4:5], exec, s[4:5]
	s_cbranch_execz .LBB31_21
; %bb.18:                               ;   in Loop: Header=BB31_10 Depth=1
	s_and_b64 vcc, exec, s[0:1]
	s_cbranch_vccnz .LBB31_20
; %bb.19:                               ;   in Loop: Header=BB31_10 Depth=1
	v_mul_f32_e32 v8, v5, v5
	v_fmac_f32_e32 v8, v4, v4
	v_div_scale_f32 v9, s[38:39], v8, v8, 1.0
	v_rcp_f32_e32 v15, v9
	v_div_scale_f32 v16, vcc, 1.0, v8, 1.0
	v_fma_f32 v17, -v9, v15, 1.0
	v_fmac_f32_e32 v15, v17, v15
	v_mul_f32_e32 v17, v16, v15
	v_fma_f32 v18, -v9, v17, v16
	v_fmac_f32_e32 v17, v18, v15
	v_fma_f32 v9, -v9, v17, v16
	v_div_fmas_f32 v9, v9, v15, v17
	v_div_fixup_f32 v8, v9, v8, 1.0
	v_fma_f32 v16, 0, v5, v4
	v_fma_f32 v17, v4, 0, -v5
	v_pk_mul_f32 v[8:9], v[16:17], v[8:9] op_sel_hi:[1,0]
	v_mov_b32_e32 v15, s8
	ds_write_b64 v15, v[8:9]
.LBB31_20:                              ;   in Loop: Header=BB31_10 Depth=1
	s_xor_b64 s[38:39], exec, -1
.LBB31_21:                              ;   in Loop: Header=BB31_10 Depth=1
	s_or_b64 exec, exec, s[4:5]
	s_and_b64 s[38:39], s[38:39], exec
.LBB31_22:                              ;   in Loop: Header=BB31_10 Depth=1
	s_or_b64 exec, exec, s[40:41]
	s_mov_b32 s17, 4
	v_pk_mov_b32 v[8:9], v[2:3], v[2:3] op_sel:[0,1]
	s_branch .LBB31_25
.LBB31_23:                              ;   in Loop: Header=BB31_10 Depth=1
	s_mov_b64 s[38:39], 0
                                        ; implicit-def: $vgpr8_vgpr9
                                        ; implicit-def: $sgpr17
	s_cbranch_execnz .LBB31_26
	s_branch .LBB31_28
.LBB31_24:                              ;   in Loop: Header=BB31_10 Depth=1
	s_mov_b64 s[38:39], -1
                                        ; implicit-def: $vgpr8_vgpr9
                                        ; implicit-def: $sgpr17
.LBB31_25:                              ;   in Loop: Header=BB31_10 Depth=1
	s_branch .LBB31_28
.LBB31_26:                              ;   in Loop: Header=BB31_10 Depth=1
	s_cmp_eq_u32 s9, 0
	s_cbranch_scc1 .LBB31_30
; %bb.27:                               ;   in Loop: Header=BB31_10 Depth=1
	s_mov_b64 s[38:39], -1
                                        ; implicit-def: $vgpr8_vgpr9
                                        ; implicit-def: $sgpr17
.LBB31_28:                              ;   in Loop: Header=BB31_10 Depth=1
	v_mov_b32_e32 v15, s17
	s_and_saveexec_b64 s[2:3], s[38:39]
	s_cbranch_execnz .LBB31_33
.LBB31_29:                              ;   in Loop: Header=BB31_10 Depth=1
	s_or_b64 exec, exec, s[2:3]
	s_and_saveexec_b64 s[2:3], s[36:37]
	s_cbranch_execnz .LBB31_37
	s_branch .LBB31_40
.LBB31_30:                              ;   in Loop: Header=BB31_10 Depth=1
	v_cmp_ge_i64_e32 vcc, s[6:7], v[6:7]
	s_mov_b64 s[38:39], 0
	s_and_saveexec_b64 s[4:5], vcc
; %bb.31:                               ;   in Loop: Header=BB31_10 Depth=1
	s_mov_b64 s[36:37], exec
	s_and_b64 s[38:39], s[2:3], exec
; %bb.32:                               ;   in Loop: Header=BB31_10 Depth=1
	s_or_b64 exec, exec, s[4:5]
	s_mov_b32 s17, 2
	v_pk_mov_b32 v[8:9], v[2:3], v[2:3] op_sel:[0,1]
	v_mov_b32_e32 v15, s17
	s_and_saveexec_b64 s[2:3], s[38:39]
	s_cbranch_execz .LBB31_29
.LBB31_33:                              ;   in Loop: Header=BB31_10 Depth=1
	v_lshlrev_b64 v[8:9], 2, v[6:7]
	v_mov_b32_e32 v15, s15
	v_add_co_u32_e32 v8, vcc, s14, v8
	v_addc_co_u32_e32 v9, vcc, v15, v9, vcc
	global_load_dword v15, v[8:9], off glc
	s_waitcnt vmcnt(0)
	v_cmp_eq_u32_e32 vcc, 0, v15
	s_and_saveexec_b64 s[4:5], vcc
	s_cbranch_execz .LBB31_36
; %bb.34:                               ;   in Loop: Header=BB31_10 Depth=1
	s_mov_b64 s[38:39], 0
.LBB31_35:                              ;   Parent Loop BB31_10 Depth=1
                                        ; =>  This Inner Loop Header: Depth=2
	global_load_dword v15, v[8:9], off glc
	s_waitcnt vmcnt(0)
	v_cmp_ne_u32_e32 vcc, 0, v15
	s_or_b64 s[38:39], vcc, s[38:39]
	s_andn2_b64 exec, exec, s[38:39]
	s_cbranch_execnz .LBB31_35
.LBB31_36:                              ;   in Loop: Header=BB31_10 Depth=1
	s_or_b64 exec, exec, s[4:5]
	v_lshlrev_b64 v[6:7], 3, v[6:7]
	v_mov_b32_e32 v8, s13
	v_add_co_u32_e32 v6, vcc, s12, v6
	v_addc_co_u32_e32 v7, vcc, v8, v7, vcc
	s_waitcnt lgkmcnt(0)
	buffer_wbinvl1_vol
	global_load_dwordx2 v[6:7], v[6:7], off
	v_mov_b32_e32 v15, 0
	s_andn2_b64 s[36:37], s[36:37], exec
	s_waitcnt vmcnt(0)
	v_pk_fma_f32 v[8:9], v[4:5], v[6:7], v[2:3] op_sel_hi:[1,0,1] neg_lo:[1,0,0] neg_hi:[1,0,0]
	v_pk_fma_f32 v[8:9], v[4:5], v[6:7], v[8:9] op_sel:[1,1,0] op_sel_hi:[0,1,1] neg_hi:[1,0,0]
	s_or_b64 exec, exec, s[2:3]
	s_and_saveexec_b64 s[2:3], s[36:37]
	s_cbranch_execz .LBB31_40
.LBB31_37:                              ;   in Loop: Header=BB31_10 Depth=1
	s_and_b64 vcc, exec, s[0:1]
	s_cbranch_vccnz .LBB31_39
; %bb.38:                               ;   in Loop: Header=BB31_10 Depth=1
	v_mul_f32_e32 v6, v5, v5
	v_fmac_f32_e32 v6, v4, v4
	v_div_scale_f32 v7, s[4:5], v6, v6, 1.0
	v_rcp_f32_e32 v8, v7
	v_div_scale_f32 v9, vcc, 1.0, v6, 1.0
	v_fma_f32 v15, -v7, v8, 1.0
	v_fmac_f32_e32 v8, v15, v8
	v_mul_f32_e32 v15, v9, v8
	v_fma_f32 v16, -v7, v15, v9
	v_fmac_f32_e32 v15, v16, v8
	v_fma_f32 v7, -v7, v15, v9
	v_div_fmas_f32 v7, v7, v8, v15
	v_div_fixup_f32 v6, v7, v6, 1.0
	v_fma_f32 v8, 0, v5, v4
	v_fma_f32 v9, v4, 0, -v5
	v_pk_mul_f32 v[4:5], v[8:9], v[6:7] op_sel_hi:[1,0]
	v_mov_b32_e32 v6, s8
	ds_write_b64 v6, v[4:5]
.LBB31_39:                              ;   in Loop: Header=BB31_10 Depth=1
	v_mov_b32_e32 v15, 2
	v_pk_mov_b32 v[8:9], v[2:3], v[2:3] op_sel:[0,1]
.LBB31_40:                              ;   in Loop: Header=BB31_10 Depth=1
	s_or_b64 exec, exec, s[2:3]
	v_cmp_gt_i32_e32 vcc, 4, v15
	s_mov_b64 s[2:3], -1
	s_mov_b64 s[4:5], -1
	s_and_saveexec_b64 s[36:37], vcc
; %bb.41:                               ;   in Loop: Header=BB31_10 Depth=1
	v_cmp_eq_u32_e32 vcc, 0, v15
	s_orn2_b64 s[4:5], vcc, exec
; %bb.42:                               ;   in Loop: Header=BB31_10 Depth=1
	s_or_b64 exec, exec, s[36:37]
	s_and_saveexec_b64 s[36:37], s[4:5]
	s_cbranch_execz .LBB31_9
; %bb.43:                               ;   in Loop: Header=BB31_10 Depth=1
	v_add_co_u32_e32 v0, vcc, 32, v0
	v_addc_co_u32_e32 v1, vcc, 0, v1, vcc
	v_cmp_le_i64_e32 vcc, s[22:23], v[0:1]
	s_orn2_b64 s[2:3], vcc, exec
	s_branch .LBB31_9
.LBB31_44:
	s_or_b64 exec, exec, s[34:35]
	v_pk_mov_b32 v[2:3], v[8:9], v[8:9] op_sel:[0,1]
.LBB31_45:
	s_or_b64 exec, exec, s[24:25]
	s_nop 0
	v_mov_b32_dpp v0, v2 row_shr:1 row_mask:0xf bank_mask:0xf
	v_mov_b32_dpp v1, v3 row_shr:1 row_mask:0xf bank_mask:0xf
	v_pk_add_f32 v[0:1], v[2:3], v[0:1]
	s_cmp_lg_u32 s10, 0
	s_nop 0
	v_mov_b32_dpp v2, v0 row_shr:2 row_mask:0xf bank_mask:0xf
	v_mov_b32_dpp v3, v1 row_shr:2 row_mask:0xf bank_mask:0xf
	v_pk_add_f32 v[0:1], v[0:1], v[2:3]
	s_nop 1
	v_mov_b32_dpp v2, v0 row_shr:4 row_mask:0xf bank_mask:0xe
	v_mov_b32_dpp v3, v1 row_shr:4 row_mask:0xf bank_mask:0xe
	v_pk_add_f32 v[0:1], v[0:1], v[2:3]
	;; [unrolled: 4-line block ×3, first 2 shown]
	s_nop 1
	v_mov_b32_dpp v2, v0 row_bcast:15 row_mask:0xa bank_mask:0xf
	v_mov_b32_dpp v3, v1 row_bcast:15 row_mask:0xa bank_mask:0xf
	v_pk_add_f32 v[0:1], v[0:1], v[2:3]
	s_cbranch_scc0 .LBB31_49
; %bb.46:
	v_cmp_eq_u32_e32 vcc, 31, v10
	s_and_saveexec_b64 s[0:1], vcc
	s_cbranch_execz .LBB31_48
.LBB31_47:
	s_add_u32 s0, s12, s20
	s_addc_u32 s1, s13, s21
	s_lshl_b64 s[2:3], s[6:7], 2
	v_mov_b32_e32 v2, 0
	s_add_u32 s2, s14, s2
	s_addc_u32 s3, s15, s3
	global_store_dwordx2 v2, v[0:1], s[0:1] glc slc
	v_mov_b32_e32 v0, 1
	s_waitcnt vmcnt(0)
	global_store_dword v2, v0, s[2:3]
.LBB31_48:
	s_endpgm
.LBB31_49:
	s_lshl_b32 s0, s11, 3
	v_mov_b32_e32 v2, s0
	s_waitcnt lgkmcnt(0)
	ds_read_b64 v[2:3], v2
	s_waitcnt lgkmcnt(0)
	v_pk_mul_f32 v[4:5], v[2:3], v[0:1] op_sel:[1,1] op_sel_hi:[1,0] neg_lo:[0,1]
	v_pk_fma_f32 v[0:1], v[0:1], v[2:3], v[4:5] op_sel_hi:[1,0,1]
	v_cmp_eq_u32_e32 vcc, 31, v10
	s_and_saveexec_b64 s[0:1], vcc
	s_cbranch_execnz .LBB31_47
	s_branch .LBB31_48
	.section	.rodata,"a",@progbits
	.p2align	6, 0x0
	.amdhsa_kernel _ZN9rocsparseL12csrsv_kernelILj1024ELj32ELb0Ell21rocsparse_complex_numIfEEEvT3_NS_24const_host_device_scalarIT4_EEPKT2_PKS3_PKS5_SD_lPS5_PiSB_iPS3_21rocsparse_index_base_20rocsparse_fill_mode_20rocsparse_diag_type_b
		.amdhsa_group_segment_fixed_size 256
		.amdhsa_private_segment_fixed_size 0
		.amdhsa_kernarg_size 112
		.amdhsa_user_sgpr_count 6
		.amdhsa_user_sgpr_private_segment_buffer 1
		.amdhsa_user_sgpr_dispatch_ptr 0
		.amdhsa_user_sgpr_queue_ptr 0
		.amdhsa_user_sgpr_kernarg_segment_ptr 1
		.amdhsa_user_sgpr_dispatch_id 0
		.amdhsa_user_sgpr_flat_scratch_init 0
		.amdhsa_user_sgpr_kernarg_preload_length 0
		.amdhsa_user_sgpr_kernarg_preload_offset 0
		.amdhsa_user_sgpr_private_segment_size 0
		.amdhsa_uses_dynamic_stack 0
		.amdhsa_system_sgpr_private_segment_wavefront_offset 0
		.amdhsa_system_sgpr_workgroup_id_x 1
		.amdhsa_system_sgpr_workgroup_id_y 0
		.amdhsa_system_sgpr_workgroup_id_z 0
		.amdhsa_system_sgpr_workgroup_info 0
		.amdhsa_system_vgpr_workitem_id 0
		.amdhsa_next_free_vgpr 19
		.amdhsa_next_free_sgpr 42
		.amdhsa_accum_offset 20
		.amdhsa_reserve_vcc 1
		.amdhsa_reserve_flat_scratch 0
		.amdhsa_float_round_mode_32 0
		.amdhsa_float_round_mode_16_64 0
		.amdhsa_float_denorm_mode_32 3
		.amdhsa_float_denorm_mode_16_64 3
		.amdhsa_dx10_clamp 1
		.amdhsa_ieee_mode 1
		.amdhsa_fp16_overflow 0
		.amdhsa_tg_split 0
		.amdhsa_exception_fp_ieee_invalid_op 0
		.amdhsa_exception_fp_denorm_src 0
		.amdhsa_exception_fp_ieee_div_zero 0
		.amdhsa_exception_fp_ieee_overflow 0
		.amdhsa_exception_fp_ieee_underflow 0
		.amdhsa_exception_fp_ieee_inexact 0
		.amdhsa_exception_int_div_zero 0
	.end_amdhsa_kernel
	.section	.text._ZN9rocsparseL12csrsv_kernelILj1024ELj32ELb0Ell21rocsparse_complex_numIfEEEvT3_NS_24const_host_device_scalarIT4_EEPKT2_PKS3_PKS5_SD_lPS5_PiSB_iPS3_21rocsparse_index_base_20rocsparse_fill_mode_20rocsparse_diag_type_b,"axG",@progbits,_ZN9rocsparseL12csrsv_kernelILj1024ELj32ELb0Ell21rocsparse_complex_numIfEEEvT3_NS_24const_host_device_scalarIT4_EEPKT2_PKS3_PKS5_SD_lPS5_PiSB_iPS3_21rocsparse_index_base_20rocsparse_fill_mode_20rocsparse_diag_type_b,comdat
.Lfunc_end31:
	.size	_ZN9rocsparseL12csrsv_kernelILj1024ELj32ELb0Ell21rocsparse_complex_numIfEEEvT3_NS_24const_host_device_scalarIT4_EEPKT2_PKS3_PKS5_SD_lPS5_PiSB_iPS3_21rocsparse_index_base_20rocsparse_fill_mode_20rocsparse_diag_type_b, .Lfunc_end31-_ZN9rocsparseL12csrsv_kernelILj1024ELj32ELb0Ell21rocsparse_complex_numIfEEEvT3_NS_24const_host_device_scalarIT4_EEPKT2_PKS3_PKS5_SD_lPS5_PiSB_iPS3_21rocsparse_index_base_20rocsparse_fill_mode_20rocsparse_diag_type_b
                                        ; -- End function
	.section	.AMDGPU.csdata,"",@progbits
; Kernel info:
; codeLenInByte = 1624
; NumSgprs: 46
; NumVgprs: 19
; NumAgprs: 0
; TotalNumVgprs: 19
; ScratchSize: 0
; MemoryBound: 0
; FloatMode: 240
; IeeeMode: 1
; LDSByteSize: 256 bytes/workgroup (compile time only)
; SGPRBlocks: 5
; VGPRBlocks: 2
; NumSGPRsForWavesPerEU: 46
; NumVGPRsForWavesPerEU: 19
; AccumOffset: 20
; Occupancy: 8
; WaveLimiterHint : 1
; COMPUTE_PGM_RSRC2:SCRATCH_EN: 0
; COMPUTE_PGM_RSRC2:USER_SGPR: 6
; COMPUTE_PGM_RSRC2:TRAP_HANDLER: 0
; COMPUTE_PGM_RSRC2:TGID_X_EN: 1
; COMPUTE_PGM_RSRC2:TGID_Y_EN: 0
; COMPUTE_PGM_RSRC2:TGID_Z_EN: 0
; COMPUTE_PGM_RSRC2:TIDIG_COMP_CNT: 0
; COMPUTE_PGM_RSRC3_GFX90A:ACCUM_OFFSET: 4
; COMPUTE_PGM_RSRC3_GFX90A:TG_SPLIT: 0
	.section	.text._ZN9rocsparseL12csrsv_kernelILj1024ELj64ELb0Ell21rocsparse_complex_numIfEEEvT3_NS_24const_host_device_scalarIT4_EEPKT2_PKS3_PKS5_SD_lPS5_PiSB_iPS3_21rocsparse_index_base_20rocsparse_fill_mode_20rocsparse_diag_type_b,"axG",@progbits,_ZN9rocsparseL12csrsv_kernelILj1024ELj64ELb0Ell21rocsparse_complex_numIfEEEvT3_NS_24const_host_device_scalarIT4_EEPKT2_PKS3_PKS5_SD_lPS5_PiSB_iPS3_21rocsparse_index_base_20rocsparse_fill_mode_20rocsparse_diag_type_b,comdat
	.globl	_ZN9rocsparseL12csrsv_kernelILj1024ELj64ELb0Ell21rocsparse_complex_numIfEEEvT3_NS_24const_host_device_scalarIT4_EEPKT2_PKS3_PKS5_SD_lPS5_PiSB_iPS3_21rocsparse_index_base_20rocsparse_fill_mode_20rocsparse_diag_type_b ; -- Begin function _ZN9rocsparseL12csrsv_kernelILj1024ELj64ELb0Ell21rocsparse_complex_numIfEEEvT3_NS_24const_host_device_scalarIT4_EEPKT2_PKS3_PKS5_SD_lPS5_PiSB_iPS3_21rocsparse_index_base_20rocsparse_fill_mode_20rocsparse_diag_type_b
	.p2align	8
	.type	_ZN9rocsparseL12csrsv_kernelILj1024ELj64ELb0Ell21rocsparse_complex_numIfEEEvT3_NS_24const_host_device_scalarIT4_EEPKT2_PKS3_PKS5_SD_lPS5_PiSB_iPS3_21rocsparse_index_base_20rocsparse_fill_mode_20rocsparse_diag_type_b,@function
_ZN9rocsparseL12csrsv_kernelILj1024ELj64ELb0Ell21rocsparse_complex_numIfEEEvT3_NS_24const_host_device_scalarIT4_EEPKT2_PKS3_PKS5_SD_lPS5_PiSB_iPS3_21rocsparse_index_base_20rocsparse_fill_mode_20rocsparse_diag_type_b: ; @_ZN9rocsparseL12csrsv_kernelILj1024ELj64ELb0Ell21rocsparse_complex_numIfEEEvT3_NS_24const_host_device_scalarIT4_EEPKT2_PKS3_PKS5_SD_lPS5_PiSB_iPS3_21rocsparse_index_base_20rocsparse_fill_mode_20rocsparse_diag_type_b
; %bb.0:
	s_load_dwordx4 s[8:11], s[4:5], 0x60
	s_load_dwordx4 s[0:3], s[4:5], 0x0
	s_waitcnt lgkmcnt(0)
	s_bitcmp1_b32 s11, 0
	s_cselect_b64 s[14:15], -1, 0
	s_xor_b64 s[12:13], s[14:15], -1
	s_and_b64 vcc, exec, s[14:15]
	s_mov_b32 s22, s2
	s_cbranch_vccnz .LBB32_2
; %bb.1:
	s_load_dword s22, s[2:3], 0x0
.LBB32_2:
	s_andn2_b64 vcc, exec, s[12:13]
	s_cbranch_vccnz .LBB32_4
; %bb.3:
	s_load_dword s3, s[2:3], 0x4
.LBB32_4:
	v_lshrrev_b32_e32 v1, 6, v0
	v_mov_b32_e32 v2, s0
	v_readfirstlane_b32 s11, v1
	s_lshl_b32 s0, s6, 4
	v_mov_b32_e32 v3, s1
	s_add_i32 s0, s11, s0
	s_mov_b32 s1, 0
	v_cmp_ge_i64_e32 vcc, s[0:1], v[2:3]
	s_cbranch_vccnz .LBB32_48
; %bb.5:
	s_load_dword s6, s[4:5], 0x50
	s_load_dwordx2 s[12:13], s[4:5], 0x48
	s_lshl_b64 s[14:15], s[0:1], 3
	v_and_b32_e32 v10, 63, v0
	v_cmp_eq_u32_e32 vcc, 0, v10
	s_waitcnt lgkmcnt(0)
	s_ashr_i32 s7, s6, 31
	s_add_u32 s0, s12, s14
	s_addc_u32 s2, s13, s15
	s_lshl_b64 s[6:7], s[6:7], 3
	s_add_u32 s16, s0, s6
	s_addc_u32 s17, s2, s7
	s_load_dwordx2 s[6:7], s[16:17], 0x0
	s_load_dwordx2 s[18:19], s[4:5], 0x10
	s_load_dwordx4 s[12:15], s[4:5], 0x38
	s_mov_b32 s0, s1
	v_pk_mov_b32 v[2:3], s[0:1], s[0:1] op_sel:[0,1]
	s_waitcnt lgkmcnt(0)
	s_lshl_b64 s[20:21], s[6:7], 3
	s_add_u32 s16, s18, s20
	s_addc_u32 s17, s19, s21
	s_load_dwordx4 s[16:19], s[16:17], 0x0
	s_and_saveexec_b64 s[0:1], vcc
	s_cbranch_execz .LBB32_7
; %bb.6:
	s_load_dwordx4 s[24:27], s[4:5], 0x28
	v_mov_b32_e32 v1, s22
	s_waitcnt lgkmcnt(0)
	s_mul_i32 s2, s6, s27
	s_mul_hi_u32 s23, s6, s26
	s_mul_i32 s27, s7, s26
	s_add_i32 s2, s23, s2
	s_mul_i32 s26, s6, s26
	s_add_i32 s27, s2, s27
	s_lshl_b64 s[26:27], s[26:27], 3
	s_add_u32 s24, s24, s26
	s_addc_u32 s25, s25, s27
	s_load_dwordx2 s[24:25], s[24:25], 0x0
	s_xor_b32 s2, s3, 0x80000000
	v_mov_b32_e32 v0, s2
	s_mov_b32 s23, s3
	s_waitcnt lgkmcnt(0)
	v_pk_mul_f32 v[0:1], s[24:25], v[0:1] op_sel:[1,0]
	v_pk_mov_b32 v[2:3], s[24:25], s[24:25] op_sel:[0,1]
	v_pk_fma_f32 v[2:3], s[22:23], v[2:3], v[0:1] op_sel_hi:[1,0,1]
.LBB32_7:
	s_or_b64 exec, exec, s[0:1]
	v_subrev_co_u32_e32 v0, vcc, s8, v10
	s_waitcnt lgkmcnt(0)
	s_sub_u32 s22, s18, s8
	v_subb_co_u32_e64 v1, s[2:3], 0, 0, vcc
	v_mov_b32_e32 v4, s17
	v_add_co_u32_e32 v0, vcc, s16, v0
	s_subb_u32 s23, s19, 0
	v_addc_co_u32_e32 v1, vcc, v4, v1, vcc
	s_mov_b32 s0, 0
	v_cmp_gt_i64_e32 vcc, s[22:23], v[0:1]
	s_and_saveexec_b64 s[24:25], vcc
	s_cbranch_execz .LBB32_45
; %bb.8:
	s_load_dwordx2 s[26:27], s[4:5], 0x58
	s_load_dwordx4 s[16:19], s[4:5], 0x18
	s_cmp_eq_u32 s10, 0
	s_cselect_b64 s[28:29], -1, 0
	s_add_u32 s30, s6, s8
	v_cndmask_b32_e64 v4, 0, 1, s[28:29]
	s_mov_b32 s33, s8
	s_addc_u32 s31, s7, 0
	s_lshl_b32 s8, s11, 3
	s_mov_b64 s[34:35], 0
	s_waitcnt lgkmcnt(0)
	v_mov_b32_e32 v11, s17
	v_mov_b32_e32 v12, s0
	;; [unrolled: 1-line block ×4, first 2 shown]
	v_cmp_ne_u32_e64 s[0:1], 1, v4
	s_branch .LBB32_10
.LBB32_9:                               ;   in Loop: Header=BB32_10 Depth=1
	s_or_b64 exec, exec, s[36:37]
	s_and_b64 s[2:3], exec, s[2:3]
	s_or_b64 s[34:35], s[2:3], s[34:35]
	v_pk_mov_b32 v[2:3], v[8:9], v[8:9] op_sel:[0,1]
	s_andn2_b64 exec, exec, s[34:35]
	s_cbranch_execz .LBB32_44
.LBB32_10:                              ; =>This Loop Header: Depth=1
                                        ;     Child Loop BB32_35 Depth 2
	v_lshlrev_b64 v[4:5], 3, v[0:1]
	v_add_co_u32_e32 v6, vcc, s16, v4
	v_addc_co_u32_e32 v7, vcc, v11, v5, vcc
	global_load_dwordx2 v[6:7], v[6:7], off glc slc
	v_add_co_u32_e32 v4, vcc, s18, v4
	v_addc_co_u32_e32 v5, vcc, v13, v5, vcc
	global_load_dwordx2 v[4:5], v[4:5], off glc slc
	s_waitcnt vmcnt(1)
	v_subrev_co_u32_e32 v6, vcc, s33, v6
	v_subb_co_u32_e32 v7, vcc, v7, v12, vcc
	s_waitcnt vmcnt(0)
	v_cmp_eq_f32_e32 vcc, 0, v4
	v_cmp_eq_f32_e64 s[2:3], 0, v5
	s_and_b64 s[2:3], vcc, s[2:3]
	v_cmp_eq_u64_e32 vcc, s[6:7], v[6:7]
	s_and_b64 s[2:3], s[2:3], vcc
	s_and_b64 s[2:3], s[28:29], s[2:3]
	s_and_saveexec_b64 s[4:5], s[2:3]
	s_cbranch_execz .LBB32_14
; %bb.11:                               ;   in Loop: Header=BB32_10 Depth=1
	v_mbcnt_lo_u32_b32 v4, exec_lo, 0
	v_mbcnt_hi_u32_b32 v4, exec_hi, v4
	v_cmp_eq_u32_e64 s[2:3], 0, v4
	s_and_saveexec_b64 s[36:37], s[2:3]
	s_cbranch_execz .LBB32_13
; %bb.12:                               ;   in Loop: Header=BB32_10 Depth=1
	v_pk_mov_b32 v[4:5], s[30:31], s[30:31] op_sel:[0,1]
	global_atomic_umin_x2 v14, v[4:5], s[26:27]
.LBB32_13:                              ;   in Loop: Header=BB32_10 Depth=1
	s_or_b64 exec, exec, s[36:37]
	v_mov_b32_e32 v4, 1.0
	v_mov_b32_e32 v5, 0
.LBB32_14:                              ;   in Loop: Header=BB32_10 Depth=1
	s_or_b64 exec, exec, s[4:5]
	v_cmp_ne_u64_e64 s[2:3], s[6:7], v[6:7]
	s_cmp_lt_i32 s9, 1
	s_mov_b64 s[36:37], 0
	s_cbranch_scc1 .LBB32_23
; %bb.15:                               ;   in Loop: Header=BB32_10 Depth=1
	s_cmp_eq_u32 s9, 1
	s_cbranch_scc0 .LBB32_24
; %bb.16:                               ;   in Loop: Header=BB32_10 Depth=1
	v_cmp_le_i64_e64 s[4:5], s[6:7], v[6:7]
	s_mov_b64 s[38:39], 0
	s_and_saveexec_b64 s[40:41], s[4:5]
	s_cbranch_execz .LBB32_22
; %bb.17:                               ;   in Loop: Header=BB32_10 Depth=1
	s_mov_b64 s[38:39], -1
	s_and_saveexec_b64 s[4:5], vcc
	s_xor_b64 s[4:5], exec, s[4:5]
	s_cbranch_execz .LBB32_21
; %bb.18:                               ;   in Loop: Header=BB32_10 Depth=1
	s_and_b64 vcc, exec, s[0:1]
	s_cbranch_vccnz .LBB32_20
; %bb.19:                               ;   in Loop: Header=BB32_10 Depth=1
	v_mul_f32_e32 v8, v5, v5
	v_fmac_f32_e32 v8, v4, v4
	v_div_scale_f32 v9, s[38:39], v8, v8, 1.0
	v_rcp_f32_e32 v15, v9
	v_div_scale_f32 v16, vcc, 1.0, v8, 1.0
	v_fma_f32 v17, -v9, v15, 1.0
	v_fmac_f32_e32 v15, v17, v15
	v_mul_f32_e32 v17, v16, v15
	v_fma_f32 v18, -v9, v17, v16
	v_fmac_f32_e32 v17, v18, v15
	v_fma_f32 v9, -v9, v17, v16
	v_div_fmas_f32 v9, v9, v15, v17
	v_div_fixup_f32 v8, v9, v8, 1.0
	v_fma_f32 v16, 0, v5, v4
	v_fma_f32 v17, v4, 0, -v5
	v_pk_mul_f32 v[8:9], v[16:17], v[8:9] op_sel_hi:[1,0]
	v_mov_b32_e32 v15, s8
	ds_write_b64 v15, v[8:9]
.LBB32_20:                              ;   in Loop: Header=BB32_10 Depth=1
	s_xor_b64 s[38:39], exec, -1
.LBB32_21:                              ;   in Loop: Header=BB32_10 Depth=1
	s_or_b64 exec, exec, s[4:5]
	s_and_b64 s[38:39], s[38:39], exec
.LBB32_22:                              ;   in Loop: Header=BB32_10 Depth=1
	s_or_b64 exec, exec, s[40:41]
	s_mov_b32 s17, 4
	v_pk_mov_b32 v[8:9], v[2:3], v[2:3] op_sel:[0,1]
	s_branch .LBB32_25
.LBB32_23:                              ;   in Loop: Header=BB32_10 Depth=1
	s_mov_b64 s[38:39], 0
                                        ; implicit-def: $vgpr8_vgpr9
                                        ; implicit-def: $sgpr17
	s_cbranch_execnz .LBB32_26
	s_branch .LBB32_28
.LBB32_24:                              ;   in Loop: Header=BB32_10 Depth=1
	s_mov_b64 s[38:39], -1
                                        ; implicit-def: $vgpr8_vgpr9
                                        ; implicit-def: $sgpr17
.LBB32_25:                              ;   in Loop: Header=BB32_10 Depth=1
	s_branch .LBB32_28
.LBB32_26:                              ;   in Loop: Header=BB32_10 Depth=1
	s_cmp_eq_u32 s9, 0
	s_cbranch_scc1 .LBB32_30
; %bb.27:                               ;   in Loop: Header=BB32_10 Depth=1
	s_mov_b64 s[38:39], -1
                                        ; implicit-def: $vgpr8_vgpr9
                                        ; implicit-def: $sgpr17
.LBB32_28:                              ;   in Loop: Header=BB32_10 Depth=1
	v_mov_b32_e32 v15, s17
	s_and_saveexec_b64 s[2:3], s[38:39]
	s_cbranch_execnz .LBB32_33
.LBB32_29:                              ;   in Loop: Header=BB32_10 Depth=1
	s_or_b64 exec, exec, s[2:3]
	s_and_saveexec_b64 s[2:3], s[36:37]
	s_cbranch_execnz .LBB32_37
	s_branch .LBB32_40
.LBB32_30:                              ;   in Loop: Header=BB32_10 Depth=1
	v_cmp_ge_i64_e32 vcc, s[6:7], v[6:7]
	s_mov_b64 s[38:39], 0
	s_and_saveexec_b64 s[4:5], vcc
; %bb.31:                               ;   in Loop: Header=BB32_10 Depth=1
	s_mov_b64 s[36:37], exec
	s_and_b64 s[38:39], s[2:3], exec
; %bb.32:                               ;   in Loop: Header=BB32_10 Depth=1
	s_or_b64 exec, exec, s[4:5]
	s_mov_b32 s17, 2
	v_pk_mov_b32 v[8:9], v[2:3], v[2:3] op_sel:[0,1]
	v_mov_b32_e32 v15, s17
	s_and_saveexec_b64 s[2:3], s[38:39]
	s_cbranch_execz .LBB32_29
.LBB32_33:                              ;   in Loop: Header=BB32_10 Depth=1
	v_lshlrev_b64 v[8:9], 2, v[6:7]
	v_mov_b32_e32 v15, s15
	v_add_co_u32_e32 v8, vcc, s14, v8
	v_addc_co_u32_e32 v9, vcc, v15, v9, vcc
	global_load_dword v15, v[8:9], off glc
	s_waitcnt vmcnt(0)
	v_cmp_eq_u32_e32 vcc, 0, v15
	s_and_saveexec_b64 s[4:5], vcc
	s_cbranch_execz .LBB32_36
; %bb.34:                               ;   in Loop: Header=BB32_10 Depth=1
	s_mov_b64 s[38:39], 0
.LBB32_35:                              ;   Parent Loop BB32_10 Depth=1
                                        ; =>  This Inner Loop Header: Depth=2
	global_load_dword v15, v[8:9], off glc
	s_waitcnt vmcnt(0)
	v_cmp_ne_u32_e32 vcc, 0, v15
	s_or_b64 s[38:39], vcc, s[38:39]
	s_andn2_b64 exec, exec, s[38:39]
	s_cbranch_execnz .LBB32_35
.LBB32_36:                              ;   in Loop: Header=BB32_10 Depth=1
	s_or_b64 exec, exec, s[4:5]
	v_lshlrev_b64 v[6:7], 3, v[6:7]
	v_mov_b32_e32 v8, s13
	v_add_co_u32_e32 v6, vcc, s12, v6
	v_addc_co_u32_e32 v7, vcc, v8, v7, vcc
	s_waitcnt lgkmcnt(0)
	buffer_wbinvl1_vol
	global_load_dwordx2 v[6:7], v[6:7], off
	v_mov_b32_e32 v15, 0
	s_andn2_b64 s[36:37], s[36:37], exec
	s_waitcnt vmcnt(0)
	v_pk_fma_f32 v[8:9], v[4:5], v[6:7], v[2:3] op_sel_hi:[1,0,1] neg_lo:[1,0,0] neg_hi:[1,0,0]
	v_pk_fma_f32 v[8:9], v[4:5], v[6:7], v[8:9] op_sel:[1,1,0] op_sel_hi:[0,1,1] neg_hi:[1,0,0]
	s_or_b64 exec, exec, s[2:3]
	s_and_saveexec_b64 s[2:3], s[36:37]
	s_cbranch_execz .LBB32_40
.LBB32_37:                              ;   in Loop: Header=BB32_10 Depth=1
	s_and_b64 vcc, exec, s[0:1]
	s_cbranch_vccnz .LBB32_39
; %bb.38:                               ;   in Loop: Header=BB32_10 Depth=1
	v_mul_f32_e32 v6, v5, v5
	v_fmac_f32_e32 v6, v4, v4
	v_div_scale_f32 v7, s[4:5], v6, v6, 1.0
	v_rcp_f32_e32 v8, v7
	v_div_scale_f32 v9, vcc, 1.0, v6, 1.0
	v_fma_f32 v15, -v7, v8, 1.0
	v_fmac_f32_e32 v8, v15, v8
	v_mul_f32_e32 v15, v9, v8
	v_fma_f32 v16, -v7, v15, v9
	v_fmac_f32_e32 v15, v16, v8
	v_fma_f32 v7, -v7, v15, v9
	v_div_fmas_f32 v7, v7, v8, v15
	v_div_fixup_f32 v6, v7, v6, 1.0
	v_fma_f32 v8, 0, v5, v4
	v_fma_f32 v9, v4, 0, -v5
	v_pk_mul_f32 v[4:5], v[8:9], v[6:7] op_sel_hi:[1,0]
	v_mov_b32_e32 v6, s8
	ds_write_b64 v6, v[4:5]
.LBB32_39:                              ;   in Loop: Header=BB32_10 Depth=1
	v_mov_b32_e32 v15, 2
	v_pk_mov_b32 v[8:9], v[2:3], v[2:3] op_sel:[0,1]
.LBB32_40:                              ;   in Loop: Header=BB32_10 Depth=1
	s_or_b64 exec, exec, s[2:3]
	v_cmp_gt_i32_e32 vcc, 4, v15
	s_mov_b64 s[2:3], -1
	s_mov_b64 s[4:5], -1
	s_and_saveexec_b64 s[36:37], vcc
; %bb.41:                               ;   in Loop: Header=BB32_10 Depth=1
	v_cmp_eq_u32_e32 vcc, 0, v15
	s_orn2_b64 s[4:5], vcc, exec
; %bb.42:                               ;   in Loop: Header=BB32_10 Depth=1
	s_or_b64 exec, exec, s[36:37]
	s_and_saveexec_b64 s[36:37], s[4:5]
	s_cbranch_execz .LBB32_9
; %bb.43:                               ;   in Loop: Header=BB32_10 Depth=1
	v_add_co_u32_e32 v0, vcc, 64, v0
	v_addc_co_u32_e32 v1, vcc, 0, v1, vcc
	v_cmp_le_i64_e32 vcc, s[22:23], v[0:1]
	s_orn2_b64 s[2:3], vcc, exec
	s_branch .LBB32_9
.LBB32_44:
	s_or_b64 exec, exec, s[34:35]
	v_pk_mov_b32 v[2:3], v[8:9], v[8:9] op_sel:[0,1]
.LBB32_45:
	s_or_b64 exec, exec, s[24:25]
	s_nop 0
	v_mov_b32_dpp v0, v2 row_shr:1 row_mask:0xf bank_mask:0xf
	v_mov_b32_dpp v1, v3 row_shr:1 row_mask:0xf bank_mask:0xf
	v_pk_add_f32 v[0:1], v[2:3], v[0:1]
	s_cmp_lg_u32 s10, 0
	s_nop 0
	v_mov_b32_dpp v2, v0 row_shr:2 row_mask:0xf bank_mask:0xf
	v_mov_b32_dpp v3, v1 row_shr:2 row_mask:0xf bank_mask:0xf
	v_pk_add_f32 v[0:1], v[0:1], v[2:3]
	s_nop 1
	v_mov_b32_dpp v2, v0 row_shr:4 row_mask:0xf bank_mask:0xe
	v_mov_b32_dpp v3, v1 row_shr:4 row_mask:0xf bank_mask:0xe
	v_pk_add_f32 v[0:1], v[0:1], v[2:3]
	;; [unrolled: 4-line block ×3, first 2 shown]
	s_nop 1
	v_mov_b32_dpp v2, v0 row_bcast:15 row_mask:0xa bank_mask:0xf
	v_mov_b32_dpp v3, v1 row_bcast:15 row_mask:0xa bank_mask:0xf
	v_pk_add_f32 v[0:1], v[0:1], v[2:3]
	s_nop 1
	v_mov_b32_dpp v2, v0 row_bcast:31 row_mask:0xc bank_mask:0xf
	v_mov_b32_dpp v3, v1 row_bcast:31 row_mask:0xc bank_mask:0xf
	v_pk_add_f32 v[0:1], v[0:1], v[2:3]
	s_cbranch_scc0 .LBB32_49
; %bb.46:
	v_cmp_eq_u32_e32 vcc, 63, v10
	s_and_saveexec_b64 s[0:1], vcc
	s_cbranch_execz .LBB32_48
.LBB32_47:
	s_add_u32 s0, s12, s20
	s_addc_u32 s1, s13, s21
	s_lshl_b64 s[2:3], s[6:7], 2
	v_mov_b32_e32 v2, 0
	s_add_u32 s2, s14, s2
	s_addc_u32 s3, s15, s3
	global_store_dwordx2 v2, v[0:1], s[0:1] glc slc
	v_mov_b32_e32 v0, 1
	s_waitcnt vmcnt(0)
	global_store_dword v2, v0, s[2:3]
.LBB32_48:
	s_endpgm
.LBB32_49:
	s_lshl_b32 s0, s11, 3
	v_mov_b32_e32 v2, s0
	s_waitcnt lgkmcnt(0)
	ds_read_b64 v[2:3], v2
	s_waitcnt lgkmcnt(0)
	v_pk_mul_f32 v[4:5], v[2:3], v[0:1] op_sel:[1,1] op_sel_hi:[1,0] neg_lo:[0,1]
	v_pk_fma_f32 v[0:1], v[0:1], v[2:3], v[4:5] op_sel_hi:[1,0,1]
	v_cmp_eq_u32_e32 vcc, 63, v10
	s_and_saveexec_b64 s[0:1], vcc
	s_cbranch_execnz .LBB32_47
	s_branch .LBB32_48
	.section	.rodata,"a",@progbits
	.p2align	6, 0x0
	.amdhsa_kernel _ZN9rocsparseL12csrsv_kernelILj1024ELj64ELb0Ell21rocsparse_complex_numIfEEEvT3_NS_24const_host_device_scalarIT4_EEPKT2_PKS3_PKS5_SD_lPS5_PiSB_iPS3_21rocsparse_index_base_20rocsparse_fill_mode_20rocsparse_diag_type_b
		.amdhsa_group_segment_fixed_size 128
		.amdhsa_private_segment_fixed_size 0
		.amdhsa_kernarg_size 112
		.amdhsa_user_sgpr_count 6
		.amdhsa_user_sgpr_private_segment_buffer 1
		.amdhsa_user_sgpr_dispatch_ptr 0
		.amdhsa_user_sgpr_queue_ptr 0
		.amdhsa_user_sgpr_kernarg_segment_ptr 1
		.amdhsa_user_sgpr_dispatch_id 0
		.amdhsa_user_sgpr_flat_scratch_init 0
		.amdhsa_user_sgpr_kernarg_preload_length 0
		.amdhsa_user_sgpr_kernarg_preload_offset 0
		.amdhsa_user_sgpr_private_segment_size 0
		.amdhsa_uses_dynamic_stack 0
		.amdhsa_system_sgpr_private_segment_wavefront_offset 0
		.amdhsa_system_sgpr_workgroup_id_x 1
		.amdhsa_system_sgpr_workgroup_id_y 0
		.amdhsa_system_sgpr_workgroup_id_z 0
		.amdhsa_system_sgpr_workgroup_info 0
		.amdhsa_system_vgpr_workitem_id 0
		.amdhsa_next_free_vgpr 19
		.amdhsa_next_free_sgpr 42
		.amdhsa_accum_offset 20
		.amdhsa_reserve_vcc 1
		.amdhsa_reserve_flat_scratch 0
		.amdhsa_float_round_mode_32 0
		.amdhsa_float_round_mode_16_64 0
		.amdhsa_float_denorm_mode_32 3
		.amdhsa_float_denorm_mode_16_64 3
		.amdhsa_dx10_clamp 1
		.amdhsa_ieee_mode 1
		.amdhsa_fp16_overflow 0
		.amdhsa_tg_split 0
		.amdhsa_exception_fp_ieee_invalid_op 0
		.amdhsa_exception_fp_denorm_src 0
		.amdhsa_exception_fp_ieee_div_zero 0
		.amdhsa_exception_fp_ieee_overflow 0
		.amdhsa_exception_fp_ieee_underflow 0
		.amdhsa_exception_fp_ieee_inexact 0
		.amdhsa_exception_int_div_zero 0
	.end_amdhsa_kernel
	.section	.text._ZN9rocsparseL12csrsv_kernelILj1024ELj64ELb0Ell21rocsparse_complex_numIfEEEvT3_NS_24const_host_device_scalarIT4_EEPKT2_PKS3_PKS5_SD_lPS5_PiSB_iPS3_21rocsparse_index_base_20rocsparse_fill_mode_20rocsparse_diag_type_b,"axG",@progbits,_ZN9rocsparseL12csrsv_kernelILj1024ELj64ELb0Ell21rocsparse_complex_numIfEEEvT3_NS_24const_host_device_scalarIT4_EEPKT2_PKS3_PKS5_SD_lPS5_PiSB_iPS3_21rocsparse_index_base_20rocsparse_fill_mode_20rocsparse_diag_type_b,comdat
.Lfunc_end32:
	.size	_ZN9rocsparseL12csrsv_kernelILj1024ELj64ELb0Ell21rocsparse_complex_numIfEEEvT3_NS_24const_host_device_scalarIT4_EEPKT2_PKS3_PKS5_SD_lPS5_PiSB_iPS3_21rocsparse_index_base_20rocsparse_fill_mode_20rocsparse_diag_type_b, .Lfunc_end32-_ZN9rocsparseL12csrsv_kernelILj1024ELj64ELb0Ell21rocsparse_complex_numIfEEEvT3_NS_24const_host_device_scalarIT4_EEPKT2_PKS3_PKS5_SD_lPS5_PiSB_iPS3_21rocsparse_index_base_20rocsparse_fill_mode_20rocsparse_diag_type_b
                                        ; -- End function
	.section	.AMDGPU.csdata,"",@progbits
; Kernel info:
; codeLenInByte = 1652
; NumSgprs: 46
; NumVgprs: 19
; NumAgprs: 0
; TotalNumVgprs: 19
; ScratchSize: 0
; MemoryBound: 0
; FloatMode: 240
; IeeeMode: 1
; LDSByteSize: 128 bytes/workgroup (compile time only)
; SGPRBlocks: 5
; VGPRBlocks: 2
; NumSGPRsForWavesPerEU: 46
; NumVGPRsForWavesPerEU: 19
; AccumOffset: 20
; Occupancy: 8
; WaveLimiterHint : 1
; COMPUTE_PGM_RSRC2:SCRATCH_EN: 0
; COMPUTE_PGM_RSRC2:USER_SGPR: 6
; COMPUTE_PGM_RSRC2:TRAP_HANDLER: 0
; COMPUTE_PGM_RSRC2:TGID_X_EN: 1
; COMPUTE_PGM_RSRC2:TGID_Y_EN: 0
; COMPUTE_PGM_RSRC2:TGID_Z_EN: 0
; COMPUTE_PGM_RSRC2:TIDIG_COMP_CNT: 0
; COMPUTE_PGM_RSRC3_GFX90A:ACCUM_OFFSET: 4
; COMPUTE_PGM_RSRC3_GFX90A:TG_SPLIT: 0
	.section	.text._ZN9rocsparseL12csrsv_kernelILj1024ELj64ELb1Ell21rocsparse_complex_numIdEEEvT3_NS_24const_host_device_scalarIT4_EEPKT2_PKS3_PKS5_SD_lPS5_PiSB_iPS3_21rocsparse_index_base_20rocsparse_fill_mode_20rocsparse_diag_type_b,"axG",@progbits,_ZN9rocsparseL12csrsv_kernelILj1024ELj64ELb1Ell21rocsparse_complex_numIdEEEvT3_NS_24const_host_device_scalarIT4_EEPKT2_PKS3_PKS5_SD_lPS5_PiSB_iPS3_21rocsparse_index_base_20rocsparse_fill_mode_20rocsparse_diag_type_b,comdat
	.globl	_ZN9rocsparseL12csrsv_kernelILj1024ELj64ELb1Ell21rocsparse_complex_numIdEEEvT3_NS_24const_host_device_scalarIT4_EEPKT2_PKS3_PKS5_SD_lPS5_PiSB_iPS3_21rocsparse_index_base_20rocsparse_fill_mode_20rocsparse_diag_type_b ; -- Begin function _ZN9rocsparseL12csrsv_kernelILj1024ELj64ELb1Ell21rocsparse_complex_numIdEEEvT3_NS_24const_host_device_scalarIT4_EEPKT2_PKS3_PKS5_SD_lPS5_PiSB_iPS3_21rocsparse_index_base_20rocsparse_fill_mode_20rocsparse_diag_type_b
	.p2align	8
	.type	_ZN9rocsparseL12csrsv_kernelILj1024ELj64ELb1Ell21rocsparse_complex_numIdEEEvT3_NS_24const_host_device_scalarIT4_EEPKT2_PKS3_PKS5_SD_lPS5_PiSB_iPS3_21rocsparse_index_base_20rocsparse_fill_mode_20rocsparse_diag_type_b,@function
_ZN9rocsparseL12csrsv_kernelILj1024ELj64ELb1Ell21rocsparse_complex_numIdEEEvT3_NS_24const_host_device_scalarIT4_EEPKT2_PKS3_PKS5_SD_lPS5_PiSB_iPS3_21rocsparse_index_base_20rocsparse_fill_mode_20rocsparse_diag_type_b: ; @_ZN9rocsparseL12csrsv_kernelILj1024ELj64ELb1Ell21rocsparse_complex_numIdEEEvT3_NS_24const_host_device_scalarIT4_EEPKT2_PKS3_PKS5_SD_lPS5_PiSB_iPS3_21rocsparse_index_base_20rocsparse_fill_mode_20rocsparse_diag_type_b
; %bb.0:
	s_load_dwordx4 s[12:15], s[6:7], 0x68
	s_load_dwordx2 s[10:11], s[4:5], 0x4
	s_load_dwordx4 s[0:3], s[6:7], 0x0
	s_load_dwordx2 s[16:17], s[6:7], 0x10
	v_and_b32_e32 v4, 0x3ff, v0
	v_bfe_u32 v2, v0, 10, 10
	s_waitcnt lgkmcnt(0)
	s_lshr_b32 s5, s10, 16
	s_mul_i32 s5, s5, s11
	v_mul_lo_u32 v1, s5, v4
	s_and_b32 s4, 1, s15
	v_mad_u32_u24 v1, v2, s11, v1
	v_bfe_u32 v0, v0, 20, 10
	s_cmp_eq_u32 s4, 1
	v_add_lshl_u32 v2, v1, v0, 3
	v_add_u32_e32 v3, 0x100, v2
	v_pk_mov_b32 v[0:1], s[2:3], s[2:3] op_sel:[0,1]
	s_cselect_b64 vcc, -1, 0
	ds_write_b64 v2, v[0:1] offset:256
	s_mov_b64 s[4:5], src_shared_base
	v_cndmask_b32_e32 v0, v0, v3, vcc
	s_and_b64 vcc, vcc, exec
	s_cselect_b32 s4, s5, s3
	v_mov_b32_e32 v1, s4
	flat_load_dwordx2 v[0:1], v[0:1]
	v_pk_mov_b32 v[2:3], s[16:17], s[16:17] op_sel:[0,1]
	s_cbranch_vccnz .LBB33_2
; %bb.1:
	v_pk_mov_b32 v[2:3], s[2:3], s[2:3] op_sel:[0,1]
	flat_load_dwordx2 v[2:3], v[2:3] offset:8
.LBB33_2:
	v_lshrrev_b32_e32 v5, 6, v4
	v_mov_b32_e32 v6, s0
	v_readfirstlane_b32 s15, v5
	s_lshl_b32 s0, s8, 4
	v_mov_b32_e32 v7, s1
	s_add_i32 s0, s15, s0
	s_mov_b32 s1, 0
	v_cmp_ge_i64_e32 vcc, s[0:1], v[6:7]
	s_cbranch_vccnz .LBB33_48
; %bb.3:
	s_load_dword s2, s[6:7], 0x58
	s_load_dwordx2 s[4:5], s[6:7], 0x50
	s_lshl_b64 s[0:1], s[0:1], 3
	v_and_b32_e32 v16, 63, v4
	v_pk_mov_b32 v[8:9], 0, 0
	s_waitcnt lgkmcnt(0)
	s_ashr_i32 s3, s2, 31
	s_add_u32 s4, s4, s0
	s_addc_u32 s5, s5, s1
	s_lshl_b64 s[0:1], s[2:3], 3
	s_add_u32 s0, s4, s0
	s_addc_u32 s1, s5, s1
	s_load_dwordx2 s[20:21], s[0:1], 0x0
	s_load_dwordx2 s[2:3], s[6:7], 0x18
	s_load_dwordx4 s[8:11], s[6:7], 0x40
	v_cmp_eq_u32_e32 vcc, 0, v16
	v_pk_mov_b32 v[4:5], v[8:9], v[8:9] op_sel:[0,1]
	s_waitcnt lgkmcnt(0)
	s_lshl_b64 s[0:1], s[20:21], 3
	s_add_u32 s0, s2, s0
	s_addc_u32 s1, s3, s1
	s_load_dwordx4 s[0:3], s[0:1], 0x0
	s_and_saveexec_b64 s[4:5], vcc
	s_cbranch_execz .LBB33_5
; %bb.4:
	s_load_dwordx4 s[16:19], s[6:7], 0x30
	s_waitcnt lgkmcnt(0)
	s_mul_i32 s19, s20, s19
	s_mul_hi_u32 s22, s20, s18
	s_mul_i32 s23, s21, s18
	s_add_i32 s19, s22, s19
	s_mul_i32 s18, s20, s18
	s_add_i32 s19, s19, s23
	s_lshl_b64 s[18:19], s[18:19], 4
	s_add_u32 s16, s16, s18
	s_addc_u32 s17, s17, s19
	s_load_dwordx4 s[16:19], s[16:17], 0x0
	s_waitcnt vmcnt(0) lgkmcnt(0)
	v_mul_f64 v[8:9], s[18:19], -v[2:3]
	v_mul_f64 v[4:5], v[0:1], s[18:19]
	v_fmac_f64_e32 v[8:9], s[16:17], v[0:1]
	v_fmac_f64_e32 v[4:5], s[16:17], v[2:3]
.LBB33_5:
	s_or_b64 exec, exec, s[4:5]
	s_waitcnt lgkmcnt(0)
	s_sub_u32 s22, s2, s12
	s_waitcnt vmcnt(0)
	v_subrev_co_u32_e32 v0, vcc, s12, v16
	s_subb_u32 s23, s3, 0
	v_subb_co_u32_e64 v1, s[2:3], 0, 0, vcc
	v_mov_b32_e32 v2, s1
	v_add_co_u32_e32 v6, vcc, s0, v0
	v_addc_co_u32_e32 v7, vcc, v2, v1, vcc
	s_mov_b32 s4, 0
	v_cmp_gt_i64_e32 vcc, s[22:23], v[6:7]
	s_and_saveexec_b64 s[24:25], vcc
	s_cbranch_execz .LBB33_45
; %bb.6:
	s_load_dwordx2 s[26:27], s[6:7], 0x60
	s_load_dwordx4 s[16:19], s[6:7], 0x20
	s_cmp_eq_u32 s14, 0
	s_cselect_b64 s[6:7], -1, 0
	s_add_u32 s28, s20, s12
	v_cndmask_b32_e64 v0, 0, 1, s[6:7]
	s_mov_b32 s33, s12
	s_addc_u32 s29, s21, 0
	s_lshl_b32 s12, s15, 4
	s_mov_b64 s[30:31], 0
	s_waitcnt lgkmcnt(0)
	v_mov_b32_e32 v17, s17
	v_mov_b32_e32 v18, s4
	;; [unrolled: 1-line block ×4, first 2 shown]
	v_cmp_ne_u32_e64 s[0:1], 1, v0
	s_branch .LBB33_8
.LBB33_7:                               ;   in Loop: Header=BB33_8 Depth=1
	s_or_b64 exec, exec, s[34:35]
	s_and_b64 s[2:3], exec, s[2:3]
	s_or_b64 s[30:31], s[2:3], s[30:31]
	v_pk_mov_b32 v[4:5], v[12:13], v[12:13] op_sel:[0,1]
	v_pk_mov_b32 v[8:9], v[14:15], v[14:15] op_sel:[0,1]
	s_andn2_b64 exec, exec, s[30:31]
	s_cbranch_execz .LBB33_44
.LBB33_8:                               ; =>This Loop Header: Depth=1
                                        ;     Child Loop BB33_34 Depth 2
                                        ;       Child Loop BB33_35 Depth 3
	v_lshlrev_b64 v[0:1], 3, v[6:7]
	v_add_co_u32_e32 v0, vcc, s16, v0
	v_addc_co_u32_e32 v1, vcc, v17, v1, vcc
	global_load_dwordx2 v[10:11], v[0:1], off glc slc
	v_lshlrev_b64 v[0:1], 4, v[6:7]
	v_add_co_u32_e32 v0, vcc, s18, v0
	v_addc_co_u32_e32 v1, vcc, v19, v1, vcc
	global_load_dwordx4 v[0:3], v[0:1], off glc slc
	s_waitcnt vmcnt(1)
	v_subrev_co_u32_e32 v10, vcc, s33, v10
	v_subb_co_u32_e32 v11, vcc, v11, v18, vcc
	s_waitcnt vmcnt(0)
	v_cmp_eq_f64_e32 vcc, 0, v[0:1]
	v_cmp_eq_f64_e64 s[2:3], 0, v[2:3]
	s_and_b64 s[2:3], vcc, s[2:3]
	v_cmp_eq_u64_e32 vcc, s[20:21], v[10:11]
	s_and_b64 s[2:3], s[2:3], vcc
	s_and_b64 s[2:3], s[6:7], s[2:3]
	s_and_saveexec_b64 s[4:5], s[2:3]
	s_cbranch_execz .LBB33_12
; %bb.9:                                ;   in Loop: Header=BB33_8 Depth=1
	v_mbcnt_lo_u32_b32 v0, exec_lo, 0
	v_mbcnt_hi_u32_b32 v0, exec_hi, v0
	v_cmp_eq_u32_e64 s[2:3], 0, v0
	s_and_saveexec_b64 s[34:35], s[2:3]
	s_cbranch_execz .LBB33_11
; %bb.10:                               ;   in Loop: Header=BB33_8 Depth=1
	v_pk_mov_b32 v[0:1], s[28:29], s[28:29] op_sel:[0,1]
	global_atomic_umin_x2 v20, v[0:1], s[26:27]
.LBB33_11:                              ;   in Loop: Header=BB33_8 Depth=1
	s_or_b64 exec, exec, s[34:35]
	v_mov_b32_e32 v0, 0
	v_mov_b32_e32 v1, 0x3ff00000
	v_pk_mov_b32 v[2:3], 0, 0
.LBB33_12:                              ;   in Loop: Header=BB33_8 Depth=1
	s_or_b64 exec, exec, s[4:5]
	v_cmp_ne_u64_e64 s[2:3], s[20:21], v[10:11]
	s_cmp_lt_i32 s13, 1
	s_mov_b64 s[34:35], 0
	s_cbranch_scc1 .LBB33_21
; %bb.13:                               ;   in Loop: Header=BB33_8 Depth=1
	s_cmp_eq_u32 s13, 1
	s_cbranch_scc0 .LBB33_22
; %bb.14:                               ;   in Loop: Header=BB33_8 Depth=1
	v_cmp_le_i64_e64 s[4:5], s[20:21], v[10:11]
	s_mov_b64 s[36:37], 0
	s_and_saveexec_b64 s[38:39], s[4:5]
	s_cbranch_execz .LBB33_20
; %bb.15:                               ;   in Loop: Header=BB33_8 Depth=1
	s_mov_b64 s[36:37], -1
	s_and_saveexec_b64 s[4:5], vcc
	s_xor_b64 s[4:5], exec, s[4:5]
	s_cbranch_execz .LBB33_19
; %bb.16:                               ;   in Loop: Header=BB33_8 Depth=1
	s_and_b64 vcc, exec, s[0:1]
	s_cbranch_vccnz .LBB33_18
; %bb.17:                               ;   in Loop: Header=BB33_8 Depth=1
	v_mul_f64 v[12:13], v[2:3], v[2:3]
	v_fmac_f64_e32 v[12:13], v[0:1], v[0:1]
	v_div_scale_f64 v[14:15], s[36:37], v[12:13], v[12:13], 1.0
	v_rcp_f64_e32 v[22:23], v[14:15]
	v_div_scale_f64 v[24:25], vcc, 1.0, v[12:13], 1.0
	v_mov_b32_e32 v21, s12
	v_fma_f64 v[26:27], -v[14:15], v[22:23], 1.0
	v_fmac_f64_e32 v[22:23], v[22:23], v[26:27]
	v_fma_f64 v[26:27], -v[14:15], v[22:23], 1.0
	v_fmac_f64_e32 v[22:23], v[22:23], v[26:27]
	v_mul_f64 v[26:27], v[24:25], v[22:23]
	v_fma_f64 v[14:15], -v[14:15], v[26:27], v[24:25]
	v_div_fmas_f64 v[14:15], v[14:15], v[22:23], v[26:27]
	v_div_fixup_f64 v[14:15], v[14:15], v[12:13], 1.0
	v_fma_f64 v[12:13], 0, v[2:3], v[0:1]
	v_fma_f64 v[22:23], v[0:1], 0, -v[2:3]
	v_mul_f64 v[12:13], v[12:13], v[14:15]
	v_mul_f64 v[14:15], v[22:23], v[14:15]
	ds_write_b128 v21, v[12:15]
.LBB33_18:                              ;   in Loop: Header=BB33_8 Depth=1
	s_xor_b64 s[36:37], exec, -1
.LBB33_19:                              ;   in Loop: Header=BB33_8 Depth=1
	s_or_b64 exec, exec, s[4:5]
	s_and_b64 s[36:37], s[36:37], exec
.LBB33_20:                              ;   in Loop: Header=BB33_8 Depth=1
	s_or_b64 exec, exec, s[38:39]
	s_mov_b32 s17, 4
	v_pk_mov_b32 v[12:13], v[4:5], v[4:5] op_sel:[0,1]
	v_pk_mov_b32 v[14:15], v[8:9], v[8:9] op_sel:[0,1]
	s_branch .LBB33_23
.LBB33_21:                              ;   in Loop: Header=BB33_8 Depth=1
	s_mov_b64 s[36:37], 0
                                        ; implicit-def: $sgpr17
                                        ; implicit-def: $vgpr12_vgpr13
                                        ; implicit-def: $vgpr14_vgpr15
	s_cbranch_execnz .LBB33_24
	s_branch .LBB33_26
.LBB33_22:                              ;   in Loop: Header=BB33_8 Depth=1
	s_mov_b64 s[36:37], -1
                                        ; implicit-def: $sgpr17
                                        ; implicit-def: $vgpr12_vgpr13
                                        ; implicit-def: $vgpr14_vgpr15
.LBB33_23:                              ;   in Loop: Header=BB33_8 Depth=1
	s_branch .LBB33_26
.LBB33_24:                              ;   in Loop: Header=BB33_8 Depth=1
	s_cmp_eq_u32 s13, 0
	s_cbranch_scc1 .LBB33_28
; %bb.25:                               ;   in Loop: Header=BB33_8 Depth=1
	s_mov_b64 s[36:37], -1
                                        ; implicit-def: $sgpr17
                                        ; implicit-def: $vgpr12_vgpr13
                                        ; implicit-def: $vgpr14_vgpr15
.LBB33_26:                              ;   in Loop: Header=BB33_8 Depth=1
	v_mov_b32_e32 v21, s17
	s_and_saveexec_b64 s[2:3], s[36:37]
	s_cbranch_execnz .LBB33_31
.LBB33_27:                              ;   in Loop: Header=BB33_8 Depth=1
	s_or_b64 exec, exec, s[2:3]
	s_and_saveexec_b64 s[2:3], s[34:35]
	s_cbranch_execnz .LBB33_37
	s_branch .LBB33_40
.LBB33_28:                              ;   in Loop: Header=BB33_8 Depth=1
	v_cmp_ge_i64_e32 vcc, s[20:21], v[10:11]
	s_mov_b64 s[36:37], 0
	s_and_saveexec_b64 s[4:5], vcc
; %bb.29:                               ;   in Loop: Header=BB33_8 Depth=1
	s_mov_b64 s[34:35], exec
	s_and_b64 s[36:37], s[2:3], exec
; %bb.30:                               ;   in Loop: Header=BB33_8 Depth=1
	s_or_b64 exec, exec, s[4:5]
	s_mov_b32 s17, 2
	v_pk_mov_b32 v[12:13], v[4:5], v[4:5] op_sel:[0,1]
	v_pk_mov_b32 v[14:15], v[8:9], v[8:9] op_sel:[0,1]
	v_mov_b32_e32 v21, s17
	s_and_saveexec_b64 s[2:3], s[36:37]
	s_cbranch_execz .LBB33_27
.LBB33_31:                              ;   in Loop: Header=BB33_8 Depth=1
	v_lshlrev_b64 v[12:13], 2, v[10:11]
	v_mov_b32_e32 v14, s11
	v_add_co_u32_e32 v12, vcc, s10, v12
	v_addc_co_u32_e32 v13, vcc, v14, v13, vcc
	global_load_dword v14, v[12:13], off glc
	s_waitcnt vmcnt(0)
	v_cmp_eq_u32_e32 vcc, 0, v14
	s_and_saveexec_b64 s[4:5], vcc
	s_cbranch_execz .LBB33_36
; %bb.32:                               ;   in Loop: Header=BB33_8 Depth=1
	s_mov_b32 s17, 0
	s_mov_b64 s[36:37], 0
	s_branch .LBB33_34
.LBB33_33:                              ;   in Loop: Header=BB33_34 Depth=2
	global_load_dword v14, v[12:13], off glc
	s_cmpk_lt_u32 s17, 0xf43
	s_cselect_b64 s[38:39], -1, 0
	s_cmp_lg_u64 s[38:39], 0
	s_addc_u32 s17, s17, 0
	s_waitcnt vmcnt(0)
	v_cmp_ne_u32_e32 vcc, 0, v14
	s_or_b64 s[36:37], vcc, s[36:37]
	s_andn2_b64 exec, exec, s[36:37]
	s_cbranch_execz .LBB33_36
.LBB33_34:                              ;   Parent Loop BB33_8 Depth=1
                                        ; =>  This Loop Header: Depth=2
                                        ;       Child Loop BB33_35 Depth 3
	s_cmp_eq_u32 s17, 0
	s_mov_b32 s19, s17
	s_cbranch_scc1 .LBB33_33
.LBB33_35:                              ;   Parent Loop BB33_8 Depth=1
                                        ;     Parent Loop BB33_34 Depth=2
                                        ; =>    This Inner Loop Header: Depth=3
	s_add_i32 s19, s19, -1
	s_cmp_eq_u32 s19, 0
	s_sleep 1
	s_cbranch_scc0 .LBB33_35
	s_branch .LBB33_33
.LBB33_36:                              ;   in Loop: Header=BB33_8 Depth=1
	s_or_b64 exec, exec, s[4:5]
	v_lshlrev_b64 v[10:11], 4, v[10:11]
	v_mov_b32_e32 v12, s9
	v_add_co_u32_e32 v10, vcc, s8, v10
	v_addc_co_u32_e32 v11, vcc, v12, v11, vcc
	s_waitcnt lgkmcnt(0)
	buffer_wbinvl1_vol
	global_load_dwordx4 v[10:13], v[10:11], off
	v_mov_b32_e32 v21, 0
	s_andn2_b64 s[34:35], s[34:35], exec
	s_waitcnt vmcnt(0)
	v_fma_f64 v[14:15], -v[0:1], v[10:11], v[8:9]
	v_fma_f64 v[10:11], -v[2:3], v[10:11], v[4:5]
	v_fmac_f64_e32 v[14:15], v[2:3], v[12:13]
	v_fma_f64 v[12:13], -v[0:1], v[12:13], v[10:11]
	s_or_b64 exec, exec, s[2:3]
	s_and_saveexec_b64 s[2:3], s[34:35]
	s_cbranch_execz .LBB33_40
.LBB33_37:                              ;   in Loop: Header=BB33_8 Depth=1
	s_and_b64 vcc, exec, s[0:1]
	s_cbranch_vccnz .LBB33_39
; %bb.38:                               ;   in Loop: Header=BB33_8 Depth=1
	v_mul_f64 v[10:11], v[2:3], v[2:3]
	v_fmac_f64_e32 v[10:11], v[0:1], v[0:1]
	v_div_scale_f64 v[12:13], s[4:5], v[10:11], v[10:11], 1.0
	v_rcp_f64_e32 v[14:15], v[12:13]
	v_div_scale_f64 v[22:23], vcc, 1.0, v[10:11], 1.0
	v_fma_f64 v[24:25], -v[12:13], v[14:15], 1.0
	v_fmac_f64_e32 v[14:15], v[14:15], v[24:25]
	v_fma_f64 v[24:25], -v[12:13], v[14:15], 1.0
	v_fmac_f64_e32 v[14:15], v[14:15], v[24:25]
	v_mul_f64 v[24:25], v[22:23], v[14:15]
	v_fma_f64 v[12:13], -v[12:13], v[24:25], v[22:23]
	v_div_fmas_f64 v[12:13], v[12:13], v[14:15], v[24:25]
	v_div_fixup_f64 v[12:13], v[12:13], v[10:11], 1.0
	v_fma_f64 v[10:11], 0, v[2:3], v[0:1]
	v_fma_f64 v[0:1], v[0:1], 0, -v[2:3]
	v_mul_f64 v[10:11], v[10:11], v[12:13]
	v_mul_f64 v[12:13], v[0:1], v[12:13]
	v_mov_b32_e32 v0, s12
	ds_write_b128 v0, v[10:13]
.LBB33_39:                              ;   in Loop: Header=BB33_8 Depth=1
	v_mov_b32_e32 v21, 2
	v_pk_mov_b32 v[14:15], v[8:9], v[8:9] op_sel:[0,1]
	v_pk_mov_b32 v[12:13], v[4:5], v[4:5] op_sel:[0,1]
.LBB33_40:                              ;   in Loop: Header=BB33_8 Depth=1
	s_or_b64 exec, exec, s[2:3]
	v_cmp_gt_i32_e32 vcc, 4, v21
	s_mov_b64 s[2:3], -1
	s_mov_b64 s[4:5], -1
	s_and_saveexec_b64 s[34:35], vcc
; %bb.41:                               ;   in Loop: Header=BB33_8 Depth=1
	v_cmp_eq_u32_e32 vcc, 0, v21
	s_orn2_b64 s[4:5], vcc, exec
; %bb.42:                               ;   in Loop: Header=BB33_8 Depth=1
	s_or_b64 exec, exec, s[34:35]
	s_and_saveexec_b64 s[34:35], s[4:5]
	s_cbranch_execz .LBB33_7
; %bb.43:                               ;   in Loop: Header=BB33_8 Depth=1
	v_add_co_u32_e32 v6, vcc, 64, v6
	v_addc_co_u32_e32 v7, vcc, 0, v7, vcc
	v_cmp_le_i64_e32 vcc, s[22:23], v[6:7]
	s_orn2_b64 s[2:3], vcc, exec
	s_branch .LBB33_7
.LBB33_44:
	s_or_b64 exec, exec, s[30:31]
	v_pk_mov_b32 v[4:5], v[12:13], v[12:13] op_sel:[0,1]
	v_pk_mov_b32 v[8:9], v[14:15], v[14:15] op_sel:[0,1]
.LBB33_45:
	s_or_b64 exec, exec, s[24:25]
	s_nop 0
	v_mov_b32_dpp v0, v8 row_shr:1 row_mask:0xf bank_mask:0xf
	v_mov_b32_dpp v1, v9 row_shr:1 row_mask:0xf bank_mask:0xf
	v_add_f64 v[0:1], v[8:9], v[0:1]
	s_cmp_lg_u32 s14, 0
	s_nop 0
	v_mov_b32_dpp v2, v0 row_shr:2 row_mask:0xf bank_mask:0xf
	v_mov_b32_dpp v3, v1 row_shr:2 row_mask:0xf bank_mask:0xf
	v_add_f64 v[0:1], v[0:1], v[2:3]
	s_nop 1
	v_mov_b32_dpp v2, v0 row_shr:4 row_mask:0xf bank_mask:0xe
	v_mov_b32_dpp v3, v1 row_shr:4 row_mask:0xf bank_mask:0xe
	v_add_f64 v[0:1], v[0:1], v[2:3]
	;; [unrolled: 4-line block ×3, first 2 shown]
	s_nop 1
	v_mov_b32_dpp v2, v0 row_bcast:15 row_mask:0xa bank_mask:0xf
	v_mov_b32_dpp v3, v1 row_bcast:15 row_mask:0xa bank_mask:0xf
	v_add_f64 v[0:1], v[0:1], v[2:3]
	s_nop 1
	v_mov_b32_dpp v2, v0 row_bcast:31 row_mask:0xc bank_mask:0xf
	v_mov_b32_dpp v3, v1 row_bcast:31 row_mask:0xc bank_mask:0xf
	v_add_f64 v[0:1], v[0:1], v[2:3]
	v_mov_b32_dpp v2, v4 row_shr:1 row_mask:0xf bank_mask:0xf
	v_mov_b32_dpp v3, v5 row_shr:1 row_mask:0xf bank_mask:0xf
	v_add_f64 v[2:3], v[4:5], v[2:3]
	s_nop 1
	v_mov_b32_dpp v4, v2 row_shr:2 row_mask:0xf bank_mask:0xf
	v_mov_b32_dpp v5, v3 row_shr:2 row_mask:0xf bank_mask:0xf
	v_add_f64 v[2:3], v[2:3], v[4:5]
	s_nop 1
	;; [unrolled: 4-line block ×4, first 2 shown]
	v_mov_b32_dpp v4, v2 row_bcast:15 row_mask:0xa bank_mask:0xf
	v_mov_b32_dpp v5, v3 row_bcast:15 row_mask:0xa bank_mask:0xf
	v_add_f64 v[2:3], v[2:3], v[4:5]
	s_nop 1
	v_mov_b32_dpp v4, v2 row_bcast:31 row_mask:0xc bank_mask:0xf
	v_mov_b32_dpp v5, v3 row_bcast:31 row_mask:0xc bank_mask:0xf
	v_add_f64 v[2:3], v[2:3], v[4:5]
	s_cbranch_scc0 .LBB33_49
; %bb.46:
	v_cmp_eq_u32_e32 vcc, 63, v16
	s_and_saveexec_b64 s[0:1], vcc
	s_cbranch_execz .LBB33_48
.LBB33_47:
	s_lshl_b64 s[0:1], s[20:21], 4
	s_add_u32 s0, s8, s0
	s_addc_u32 s1, s9, s1
	s_lshl_b64 s[2:3], s[20:21], 2
	v_mov_b32_e32 v4, 0
	s_add_u32 s2, s10, s2
	s_addc_u32 s3, s11, s3
	global_store_dwordx4 v4, v[0:3], s[0:1] glc slc
	s_nop 0
	v_mov_b32_e32 v0, 1
	s_waitcnt vmcnt(0)
	global_store_dword v4, v0, s[2:3]
.LBB33_48:
	s_endpgm
.LBB33_49:
	s_lshl_b32 s0, s15, 4
	v_mov_b32_e32 v4, s0
	s_waitcnt lgkmcnt(0)
	ds_read_b128 v[4:7], v4
	s_waitcnt lgkmcnt(0)
	v_mul_f64 v[8:9], v[6:7], -v[2:3]
	v_mul_f64 v[6:7], v[0:1], v[6:7]
	v_fmac_f64_e32 v[8:9], v[0:1], v[4:5]
	v_fmac_f64_e32 v[6:7], v[2:3], v[4:5]
	v_pk_mov_b32 v[0:1], v[8:9], v[8:9] op_sel:[0,1]
	v_pk_mov_b32 v[2:3], v[6:7], v[6:7] op_sel:[0,1]
	v_cmp_eq_u32_e32 vcc, 63, v16
	s_and_saveexec_b64 s[0:1], vcc
	s_cbranch_execnz .LBB33_47
	s_branch .LBB33_48
	.section	.rodata,"a",@progbits
	.p2align	6, 0x0
	.amdhsa_kernel _ZN9rocsparseL12csrsv_kernelILj1024ELj64ELb1Ell21rocsparse_complex_numIdEEEvT3_NS_24const_host_device_scalarIT4_EEPKT2_PKS3_PKS5_SD_lPS5_PiSB_iPS3_21rocsparse_index_base_20rocsparse_fill_mode_20rocsparse_diag_type_b
		.amdhsa_group_segment_fixed_size 8448
		.amdhsa_private_segment_fixed_size 0
		.amdhsa_kernarg_size 120
		.amdhsa_user_sgpr_count 8
		.amdhsa_user_sgpr_private_segment_buffer 1
		.amdhsa_user_sgpr_dispatch_ptr 1
		.amdhsa_user_sgpr_queue_ptr 0
		.amdhsa_user_sgpr_kernarg_segment_ptr 1
		.amdhsa_user_sgpr_dispatch_id 0
		.amdhsa_user_sgpr_flat_scratch_init 0
		.amdhsa_user_sgpr_kernarg_preload_length 0
		.amdhsa_user_sgpr_kernarg_preload_offset 0
		.amdhsa_user_sgpr_private_segment_size 0
		.amdhsa_uses_dynamic_stack 0
		.amdhsa_system_sgpr_private_segment_wavefront_offset 0
		.amdhsa_system_sgpr_workgroup_id_x 1
		.amdhsa_system_sgpr_workgroup_id_y 0
		.amdhsa_system_sgpr_workgroup_id_z 0
		.amdhsa_system_sgpr_workgroup_info 0
		.amdhsa_system_vgpr_workitem_id 2
		.amdhsa_next_free_vgpr 28
		.amdhsa_next_free_sgpr 40
		.amdhsa_accum_offset 28
		.amdhsa_reserve_vcc 1
		.amdhsa_reserve_flat_scratch 0
		.amdhsa_float_round_mode_32 0
		.amdhsa_float_round_mode_16_64 0
		.amdhsa_float_denorm_mode_32 3
		.amdhsa_float_denorm_mode_16_64 3
		.amdhsa_dx10_clamp 1
		.amdhsa_ieee_mode 1
		.amdhsa_fp16_overflow 0
		.amdhsa_tg_split 0
		.amdhsa_exception_fp_ieee_invalid_op 0
		.amdhsa_exception_fp_denorm_src 0
		.amdhsa_exception_fp_ieee_div_zero 0
		.amdhsa_exception_fp_ieee_overflow 0
		.amdhsa_exception_fp_ieee_underflow 0
		.amdhsa_exception_fp_ieee_inexact 0
		.amdhsa_exception_int_div_zero 0
	.end_amdhsa_kernel
	.section	.text._ZN9rocsparseL12csrsv_kernelILj1024ELj64ELb1Ell21rocsparse_complex_numIdEEEvT3_NS_24const_host_device_scalarIT4_EEPKT2_PKS3_PKS5_SD_lPS5_PiSB_iPS3_21rocsparse_index_base_20rocsparse_fill_mode_20rocsparse_diag_type_b,"axG",@progbits,_ZN9rocsparseL12csrsv_kernelILj1024ELj64ELb1Ell21rocsparse_complex_numIdEEEvT3_NS_24const_host_device_scalarIT4_EEPKT2_PKS3_PKS5_SD_lPS5_PiSB_iPS3_21rocsparse_index_base_20rocsparse_fill_mode_20rocsparse_diag_type_b,comdat
.Lfunc_end33:
	.size	_ZN9rocsparseL12csrsv_kernelILj1024ELj64ELb1Ell21rocsparse_complex_numIdEEEvT3_NS_24const_host_device_scalarIT4_EEPKT2_PKS3_PKS5_SD_lPS5_PiSB_iPS3_21rocsparse_index_base_20rocsparse_fill_mode_20rocsparse_diag_type_b, .Lfunc_end33-_ZN9rocsparseL12csrsv_kernelILj1024ELj64ELb1Ell21rocsparse_complex_numIdEEEvT3_NS_24const_host_device_scalarIT4_EEPKT2_PKS3_PKS5_SD_lPS5_PiSB_iPS3_21rocsparse_index_base_20rocsparse_fill_mode_20rocsparse_diag_type_b
                                        ; -- End function
	.section	.AMDGPU.csdata,"",@progbits
; Kernel info:
; codeLenInByte = 2112
; NumSgprs: 44
; NumVgprs: 28
; NumAgprs: 0
; TotalNumVgprs: 28
; ScratchSize: 0
; MemoryBound: 0
; FloatMode: 240
; IeeeMode: 1
; LDSByteSize: 8448 bytes/workgroup (compile time only)
; SGPRBlocks: 5
; VGPRBlocks: 3
; NumSGPRsForWavesPerEU: 44
; NumVGPRsForWavesPerEU: 28
; AccumOffset: 28
; Occupancy: 8
; WaveLimiterHint : 1
; COMPUTE_PGM_RSRC2:SCRATCH_EN: 0
; COMPUTE_PGM_RSRC2:USER_SGPR: 8
; COMPUTE_PGM_RSRC2:TRAP_HANDLER: 0
; COMPUTE_PGM_RSRC2:TGID_X_EN: 1
; COMPUTE_PGM_RSRC2:TGID_Y_EN: 0
; COMPUTE_PGM_RSRC2:TGID_Z_EN: 0
; COMPUTE_PGM_RSRC2:TIDIG_COMP_CNT: 2
; COMPUTE_PGM_RSRC3_GFX90A:ACCUM_OFFSET: 6
; COMPUTE_PGM_RSRC3_GFX90A:TG_SPLIT: 0
	.section	.text._ZN9rocsparseL12csrsv_kernelILj1024ELj32ELb0Ell21rocsparse_complex_numIdEEEvT3_NS_24const_host_device_scalarIT4_EEPKT2_PKS3_PKS5_SD_lPS5_PiSB_iPS3_21rocsparse_index_base_20rocsparse_fill_mode_20rocsparse_diag_type_b,"axG",@progbits,_ZN9rocsparseL12csrsv_kernelILj1024ELj32ELb0Ell21rocsparse_complex_numIdEEEvT3_NS_24const_host_device_scalarIT4_EEPKT2_PKS3_PKS5_SD_lPS5_PiSB_iPS3_21rocsparse_index_base_20rocsparse_fill_mode_20rocsparse_diag_type_b,comdat
	.globl	_ZN9rocsparseL12csrsv_kernelILj1024ELj32ELb0Ell21rocsparse_complex_numIdEEEvT3_NS_24const_host_device_scalarIT4_EEPKT2_PKS3_PKS5_SD_lPS5_PiSB_iPS3_21rocsparse_index_base_20rocsparse_fill_mode_20rocsparse_diag_type_b ; -- Begin function _ZN9rocsparseL12csrsv_kernelILj1024ELj32ELb0Ell21rocsparse_complex_numIdEEEvT3_NS_24const_host_device_scalarIT4_EEPKT2_PKS3_PKS5_SD_lPS5_PiSB_iPS3_21rocsparse_index_base_20rocsparse_fill_mode_20rocsparse_diag_type_b
	.p2align	8
	.type	_ZN9rocsparseL12csrsv_kernelILj1024ELj32ELb0Ell21rocsparse_complex_numIdEEEvT3_NS_24const_host_device_scalarIT4_EEPKT2_PKS3_PKS5_SD_lPS5_PiSB_iPS3_21rocsparse_index_base_20rocsparse_fill_mode_20rocsparse_diag_type_b,@function
_ZN9rocsparseL12csrsv_kernelILj1024ELj32ELb0Ell21rocsparse_complex_numIdEEEvT3_NS_24const_host_device_scalarIT4_EEPKT2_PKS3_PKS5_SD_lPS5_PiSB_iPS3_21rocsparse_index_base_20rocsparse_fill_mode_20rocsparse_diag_type_b: ; @_ZN9rocsparseL12csrsv_kernelILj1024ELj32ELb0Ell21rocsparse_complex_numIdEEEvT3_NS_24const_host_device_scalarIT4_EEPKT2_PKS3_PKS5_SD_lPS5_PiSB_iPS3_21rocsparse_index_base_20rocsparse_fill_mode_20rocsparse_diag_type_b
; %bb.0:
	s_load_dwordx4 s[12:15], s[6:7], 0x68
	s_load_dwordx2 s[10:11], s[4:5], 0x4
	s_load_dwordx4 s[0:3], s[6:7], 0x0
	s_load_dwordx2 s[16:17], s[6:7], 0x10
	v_and_b32_e32 v4, 0x3ff, v0
	v_bfe_u32 v2, v0, 10, 10
	s_waitcnt lgkmcnt(0)
	s_lshr_b32 s5, s10, 16
	s_mul_i32 s5, s5, s11
	v_mul_lo_u32 v1, s5, v4
	s_and_b32 s4, 1, s15
	v_mad_u32_u24 v1, v2, s11, v1
	v_bfe_u32 v0, v0, 20, 10
	s_cmp_eq_u32 s4, 1
	v_add_lshl_u32 v2, v1, v0, 3
	v_add_u32_e32 v3, 0x200, v2
	v_pk_mov_b32 v[0:1], s[2:3], s[2:3] op_sel:[0,1]
	s_cselect_b64 vcc, -1, 0
	ds_write_b64 v2, v[0:1] offset:512
	s_mov_b64 s[4:5], src_shared_base
	v_cndmask_b32_e32 v0, v0, v3, vcc
	s_and_b64 vcc, vcc, exec
	s_cselect_b32 s4, s5, s3
	v_mov_b32_e32 v1, s4
	flat_load_dwordx2 v[0:1], v[0:1]
	v_pk_mov_b32 v[2:3], s[16:17], s[16:17] op_sel:[0,1]
	s_cbranch_vccnz .LBB34_2
; %bb.1:
	v_pk_mov_b32 v[2:3], s[2:3], s[2:3] op_sel:[0,1]
	flat_load_dwordx2 v[2:3], v[2:3] offset:8
.LBB34_2:
	v_lshrrev_b32_e32 v5, 5, v4
	v_mov_b32_e32 v6, s0
	v_readfirstlane_b32 s15, v5
	s_lshl_b32 s0, s8, 5
	v_mov_b32_e32 v7, s1
	s_add_i32 s0, s15, s0
	s_mov_b32 s1, 0
	v_cmp_ge_i64_e32 vcc, s[0:1], v[6:7]
	s_cbranch_vccnz .LBB34_46
; %bb.3:
	s_load_dword s2, s[6:7], 0x58
	s_load_dwordx2 s[4:5], s[6:7], 0x50
	s_lshl_b64 s[0:1], s[0:1], 3
	v_and_b32_e32 v16, 31, v4
	v_pk_mov_b32 v[8:9], 0, 0
	s_waitcnt lgkmcnt(0)
	s_ashr_i32 s3, s2, 31
	s_add_u32 s4, s4, s0
	s_addc_u32 s5, s5, s1
	s_lshl_b64 s[0:1], s[2:3], 3
	s_add_u32 s0, s4, s0
	s_addc_u32 s1, s5, s1
	s_load_dwordx2 s[20:21], s[0:1], 0x0
	s_load_dwordx2 s[2:3], s[6:7], 0x18
	s_load_dwordx4 s[8:11], s[6:7], 0x40
	v_cmp_eq_u32_e32 vcc, 0, v16
	v_pk_mov_b32 v[4:5], v[8:9], v[8:9] op_sel:[0,1]
	s_waitcnt lgkmcnt(0)
	s_lshl_b64 s[0:1], s[20:21], 3
	s_add_u32 s0, s2, s0
	s_addc_u32 s1, s3, s1
	s_load_dwordx4 s[0:3], s[0:1], 0x0
	s_and_saveexec_b64 s[4:5], vcc
	s_cbranch_execz .LBB34_5
; %bb.4:
	s_load_dwordx4 s[16:19], s[6:7], 0x30
	s_waitcnt lgkmcnt(0)
	s_mul_i32 s19, s20, s19
	s_mul_hi_u32 s22, s20, s18
	s_mul_i32 s23, s21, s18
	s_add_i32 s19, s22, s19
	s_mul_i32 s18, s20, s18
	s_add_i32 s19, s19, s23
	s_lshl_b64 s[18:19], s[18:19], 4
	s_add_u32 s16, s16, s18
	s_addc_u32 s17, s17, s19
	s_load_dwordx4 s[16:19], s[16:17], 0x0
	s_waitcnt vmcnt(0) lgkmcnt(0)
	v_mul_f64 v[8:9], s[18:19], -v[2:3]
	v_mul_f64 v[4:5], v[0:1], s[18:19]
	v_fmac_f64_e32 v[8:9], s[16:17], v[0:1]
	v_fmac_f64_e32 v[4:5], s[16:17], v[2:3]
.LBB34_5:
	s_or_b64 exec, exec, s[4:5]
	s_waitcnt lgkmcnt(0)
	s_sub_u32 s22, s2, s12
	s_waitcnt vmcnt(0)
	v_subrev_co_u32_e32 v0, vcc, s12, v16
	s_subb_u32 s23, s3, 0
	v_subb_co_u32_e64 v1, s[2:3], 0, 0, vcc
	v_mov_b32_e32 v2, s1
	v_add_co_u32_e32 v6, vcc, s0, v0
	v_addc_co_u32_e32 v7, vcc, v2, v1, vcc
	s_mov_b32 s4, 0
	v_cmp_gt_i64_e32 vcc, s[22:23], v[6:7]
	s_and_saveexec_b64 s[24:25], vcc
	s_cbranch_execz .LBB34_43
; %bb.6:
	s_load_dwordx2 s[26:27], s[6:7], 0x60
	s_load_dwordx4 s[16:19], s[6:7], 0x20
	s_cmp_eq_u32 s14, 0
	s_cselect_b64 s[6:7], -1, 0
	s_add_u32 s28, s20, s12
	v_cndmask_b32_e64 v0, 0, 1, s[6:7]
	s_mov_b32 s33, s12
	s_addc_u32 s29, s21, 0
	s_lshl_b32 s12, s15, 4
	s_mov_b64 s[30:31], 0
	s_waitcnt lgkmcnt(0)
	v_mov_b32_e32 v17, s17
	v_mov_b32_e32 v18, s4
	v_mov_b32_e32 v19, s19
	v_mov_b32_e32 v20, 0
	v_cmp_ne_u32_e64 s[0:1], 1, v0
	s_branch .LBB34_8
.LBB34_7:                               ;   in Loop: Header=BB34_8 Depth=1
	s_or_b64 exec, exec, s[34:35]
	s_and_b64 s[2:3], exec, s[2:3]
	s_or_b64 s[30:31], s[2:3], s[30:31]
	v_pk_mov_b32 v[4:5], v[12:13], v[12:13] op_sel:[0,1]
	v_pk_mov_b32 v[8:9], v[14:15], v[14:15] op_sel:[0,1]
	s_andn2_b64 exec, exec, s[30:31]
	s_cbranch_execz .LBB34_42
.LBB34_8:                               ; =>This Loop Header: Depth=1
                                        ;     Child Loop BB34_33 Depth 2
	v_lshlrev_b64 v[0:1], 3, v[6:7]
	v_add_co_u32_e32 v0, vcc, s16, v0
	v_addc_co_u32_e32 v1, vcc, v17, v1, vcc
	global_load_dwordx2 v[10:11], v[0:1], off glc slc
	v_lshlrev_b64 v[0:1], 4, v[6:7]
	v_add_co_u32_e32 v0, vcc, s18, v0
	v_addc_co_u32_e32 v1, vcc, v19, v1, vcc
	global_load_dwordx4 v[0:3], v[0:1], off glc slc
	s_waitcnt vmcnt(1)
	v_subrev_co_u32_e32 v10, vcc, s33, v10
	v_subb_co_u32_e32 v11, vcc, v11, v18, vcc
	s_waitcnt vmcnt(0)
	v_cmp_eq_f64_e32 vcc, 0, v[0:1]
	v_cmp_eq_f64_e64 s[2:3], 0, v[2:3]
	s_and_b64 s[2:3], vcc, s[2:3]
	v_cmp_eq_u64_e32 vcc, s[20:21], v[10:11]
	s_and_b64 s[2:3], s[2:3], vcc
	s_and_b64 s[2:3], s[6:7], s[2:3]
	s_and_saveexec_b64 s[4:5], s[2:3]
	s_cbranch_execz .LBB34_12
; %bb.9:                                ;   in Loop: Header=BB34_8 Depth=1
	v_mbcnt_lo_u32_b32 v0, exec_lo, 0
	v_mbcnt_hi_u32_b32 v0, exec_hi, v0
	v_cmp_eq_u32_e64 s[2:3], 0, v0
	s_and_saveexec_b64 s[34:35], s[2:3]
	s_cbranch_execz .LBB34_11
; %bb.10:                               ;   in Loop: Header=BB34_8 Depth=1
	v_pk_mov_b32 v[0:1], s[28:29], s[28:29] op_sel:[0,1]
	global_atomic_umin_x2 v20, v[0:1], s[26:27]
.LBB34_11:                              ;   in Loop: Header=BB34_8 Depth=1
	s_or_b64 exec, exec, s[34:35]
	v_mov_b32_e32 v0, 0
	v_mov_b32_e32 v1, 0x3ff00000
	v_pk_mov_b32 v[2:3], 0, 0
.LBB34_12:                              ;   in Loop: Header=BB34_8 Depth=1
	s_or_b64 exec, exec, s[4:5]
	v_cmp_ne_u64_e64 s[2:3], s[20:21], v[10:11]
	s_cmp_lt_i32 s13, 1
	s_mov_b64 s[34:35], 0
	s_cbranch_scc1 .LBB34_21
; %bb.13:                               ;   in Loop: Header=BB34_8 Depth=1
	s_cmp_eq_u32 s13, 1
	s_cbranch_scc0 .LBB34_22
; %bb.14:                               ;   in Loop: Header=BB34_8 Depth=1
	v_cmp_le_i64_e64 s[4:5], s[20:21], v[10:11]
	s_mov_b64 s[36:37], 0
	s_and_saveexec_b64 s[38:39], s[4:5]
	s_cbranch_execz .LBB34_20
; %bb.15:                               ;   in Loop: Header=BB34_8 Depth=1
	s_mov_b64 s[36:37], -1
	s_and_saveexec_b64 s[4:5], vcc
	s_xor_b64 s[4:5], exec, s[4:5]
	s_cbranch_execz .LBB34_19
; %bb.16:                               ;   in Loop: Header=BB34_8 Depth=1
	s_and_b64 vcc, exec, s[0:1]
	s_cbranch_vccnz .LBB34_18
; %bb.17:                               ;   in Loop: Header=BB34_8 Depth=1
	v_mul_f64 v[12:13], v[2:3], v[2:3]
	v_fmac_f64_e32 v[12:13], v[0:1], v[0:1]
	v_div_scale_f64 v[14:15], s[36:37], v[12:13], v[12:13], 1.0
	v_rcp_f64_e32 v[22:23], v[14:15]
	v_div_scale_f64 v[24:25], vcc, 1.0, v[12:13], 1.0
	v_mov_b32_e32 v21, s12
	v_fma_f64 v[26:27], -v[14:15], v[22:23], 1.0
	v_fmac_f64_e32 v[22:23], v[22:23], v[26:27]
	v_fma_f64 v[26:27], -v[14:15], v[22:23], 1.0
	v_fmac_f64_e32 v[22:23], v[22:23], v[26:27]
	v_mul_f64 v[26:27], v[24:25], v[22:23]
	v_fma_f64 v[14:15], -v[14:15], v[26:27], v[24:25]
	v_div_fmas_f64 v[14:15], v[14:15], v[22:23], v[26:27]
	v_div_fixup_f64 v[14:15], v[14:15], v[12:13], 1.0
	v_fma_f64 v[12:13], 0, v[2:3], v[0:1]
	v_fma_f64 v[22:23], v[0:1], 0, -v[2:3]
	v_mul_f64 v[12:13], v[12:13], v[14:15]
	v_mul_f64 v[14:15], v[22:23], v[14:15]
	ds_write_b128 v21, v[12:15]
.LBB34_18:                              ;   in Loop: Header=BB34_8 Depth=1
	s_xor_b64 s[36:37], exec, -1
.LBB34_19:                              ;   in Loop: Header=BB34_8 Depth=1
	s_or_b64 exec, exec, s[4:5]
	s_and_b64 s[36:37], s[36:37], exec
.LBB34_20:                              ;   in Loop: Header=BB34_8 Depth=1
	s_or_b64 exec, exec, s[38:39]
	s_mov_b32 s17, 4
	v_pk_mov_b32 v[12:13], v[4:5], v[4:5] op_sel:[0,1]
	v_pk_mov_b32 v[14:15], v[8:9], v[8:9] op_sel:[0,1]
	s_branch .LBB34_23
.LBB34_21:                              ;   in Loop: Header=BB34_8 Depth=1
	s_mov_b64 s[36:37], 0
                                        ; implicit-def: $sgpr17
                                        ; implicit-def: $vgpr12_vgpr13
                                        ; implicit-def: $vgpr14_vgpr15
	s_cbranch_execnz .LBB34_24
	s_branch .LBB34_26
.LBB34_22:                              ;   in Loop: Header=BB34_8 Depth=1
	s_mov_b64 s[36:37], -1
                                        ; implicit-def: $sgpr17
                                        ; implicit-def: $vgpr12_vgpr13
                                        ; implicit-def: $vgpr14_vgpr15
.LBB34_23:                              ;   in Loop: Header=BB34_8 Depth=1
	s_branch .LBB34_26
.LBB34_24:                              ;   in Loop: Header=BB34_8 Depth=1
	s_cmp_eq_u32 s13, 0
	s_cbranch_scc1 .LBB34_28
; %bb.25:                               ;   in Loop: Header=BB34_8 Depth=1
	s_mov_b64 s[36:37], -1
                                        ; implicit-def: $sgpr17
                                        ; implicit-def: $vgpr12_vgpr13
                                        ; implicit-def: $vgpr14_vgpr15
.LBB34_26:                              ;   in Loop: Header=BB34_8 Depth=1
	v_mov_b32_e32 v21, s17
	s_and_saveexec_b64 s[2:3], s[36:37]
	s_cbranch_execnz .LBB34_31
.LBB34_27:                              ;   in Loop: Header=BB34_8 Depth=1
	s_or_b64 exec, exec, s[2:3]
	s_and_saveexec_b64 s[2:3], s[34:35]
	s_cbranch_execnz .LBB34_35
	s_branch .LBB34_38
.LBB34_28:                              ;   in Loop: Header=BB34_8 Depth=1
	v_cmp_ge_i64_e32 vcc, s[20:21], v[10:11]
	s_mov_b64 s[36:37], 0
	s_and_saveexec_b64 s[4:5], vcc
; %bb.29:                               ;   in Loop: Header=BB34_8 Depth=1
	s_mov_b64 s[34:35], exec
	s_and_b64 s[36:37], s[2:3], exec
; %bb.30:                               ;   in Loop: Header=BB34_8 Depth=1
	s_or_b64 exec, exec, s[4:5]
	s_mov_b32 s17, 2
	v_pk_mov_b32 v[12:13], v[4:5], v[4:5] op_sel:[0,1]
	v_pk_mov_b32 v[14:15], v[8:9], v[8:9] op_sel:[0,1]
	v_mov_b32_e32 v21, s17
	s_and_saveexec_b64 s[2:3], s[36:37]
	s_cbranch_execz .LBB34_27
.LBB34_31:                              ;   in Loop: Header=BB34_8 Depth=1
	v_lshlrev_b64 v[12:13], 2, v[10:11]
	v_mov_b32_e32 v14, s11
	v_add_co_u32_e32 v12, vcc, s10, v12
	v_addc_co_u32_e32 v13, vcc, v14, v13, vcc
	global_load_dword v14, v[12:13], off glc
	s_waitcnt vmcnt(0)
	v_cmp_eq_u32_e32 vcc, 0, v14
	s_and_saveexec_b64 s[4:5], vcc
	s_cbranch_execz .LBB34_34
; %bb.32:                               ;   in Loop: Header=BB34_8 Depth=1
	s_mov_b64 s[36:37], 0
.LBB34_33:                              ;   Parent Loop BB34_8 Depth=1
                                        ; =>  This Inner Loop Header: Depth=2
	global_load_dword v14, v[12:13], off glc
	s_waitcnt vmcnt(0)
	v_cmp_ne_u32_e32 vcc, 0, v14
	s_or_b64 s[36:37], vcc, s[36:37]
	s_andn2_b64 exec, exec, s[36:37]
	s_cbranch_execnz .LBB34_33
.LBB34_34:                              ;   in Loop: Header=BB34_8 Depth=1
	s_or_b64 exec, exec, s[4:5]
	v_lshlrev_b64 v[10:11], 4, v[10:11]
	v_mov_b32_e32 v12, s9
	v_add_co_u32_e32 v10, vcc, s8, v10
	v_addc_co_u32_e32 v11, vcc, v12, v11, vcc
	s_waitcnt lgkmcnt(0)
	buffer_wbinvl1_vol
	global_load_dwordx4 v[10:13], v[10:11], off
	v_mov_b32_e32 v21, 0
	s_andn2_b64 s[34:35], s[34:35], exec
	s_waitcnt vmcnt(0)
	v_fma_f64 v[14:15], -v[0:1], v[10:11], v[8:9]
	v_fma_f64 v[10:11], -v[2:3], v[10:11], v[4:5]
	v_fmac_f64_e32 v[14:15], v[2:3], v[12:13]
	v_fma_f64 v[12:13], -v[0:1], v[12:13], v[10:11]
	s_or_b64 exec, exec, s[2:3]
	s_and_saveexec_b64 s[2:3], s[34:35]
	s_cbranch_execz .LBB34_38
.LBB34_35:                              ;   in Loop: Header=BB34_8 Depth=1
	s_and_b64 vcc, exec, s[0:1]
	s_cbranch_vccnz .LBB34_37
; %bb.36:                               ;   in Loop: Header=BB34_8 Depth=1
	v_mul_f64 v[10:11], v[2:3], v[2:3]
	v_fmac_f64_e32 v[10:11], v[0:1], v[0:1]
	v_div_scale_f64 v[12:13], s[4:5], v[10:11], v[10:11], 1.0
	v_rcp_f64_e32 v[14:15], v[12:13]
	v_div_scale_f64 v[22:23], vcc, 1.0, v[10:11], 1.0
	v_fma_f64 v[24:25], -v[12:13], v[14:15], 1.0
	v_fmac_f64_e32 v[14:15], v[14:15], v[24:25]
	v_fma_f64 v[24:25], -v[12:13], v[14:15], 1.0
	v_fmac_f64_e32 v[14:15], v[14:15], v[24:25]
	v_mul_f64 v[24:25], v[22:23], v[14:15]
	v_fma_f64 v[12:13], -v[12:13], v[24:25], v[22:23]
	v_div_fmas_f64 v[12:13], v[12:13], v[14:15], v[24:25]
	v_div_fixup_f64 v[12:13], v[12:13], v[10:11], 1.0
	v_fma_f64 v[10:11], 0, v[2:3], v[0:1]
	v_fma_f64 v[0:1], v[0:1], 0, -v[2:3]
	v_mul_f64 v[10:11], v[10:11], v[12:13]
	v_mul_f64 v[12:13], v[0:1], v[12:13]
	v_mov_b32_e32 v0, s12
	ds_write_b128 v0, v[10:13]
.LBB34_37:                              ;   in Loop: Header=BB34_8 Depth=1
	v_mov_b32_e32 v21, 2
	v_pk_mov_b32 v[14:15], v[8:9], v[8:9] op_sel:[0,1]
	v_pk_mov_b32 v[12:13], v[4:5], v[4:5] op_sel:[0,1]
.LBB34_38:                              ;   in Loop: Header=BB34_8 Depth=1
	s_or_b64 exec, exec, s[2:3]
	v_cmp_gt_i32_e32 vcc, 4, v21
	s_mov_b64 s[2:3], -1
	s_mov_b64 s[4:5], -1
	s_and_saveexec_b64 s[34:35], vcc
; %bb.39:                               ;   in Loop: Header=BB34_8 Depth=1
	v_cmp_eq_u32_e32 vcc, 0, v21
	s_orn2_b64 s[4:5], vcc, exec
; %bb.40:                               ;   in Loop: Header=BB34_8 Depth=1
	s_or_b64 exec, exec, s[34:35]
	s_and_saveexec_b64 s[34:35], s[4:5]
	s_cbranch_execz .LBB34_7
; %bb.41:                               ;   in Loop: Header=BB34_8 Depth=1
	v_add_co_u32_e32 v6, vcc, 32, v6
	v_addc_co_u32_e32 v7, vcc, 0, v7, vcc
	v_cmp_le_i64_e32 vcc, s[22:23], v[6:7]
	s_orn2_b64 s[2:3], vcc, exec
	s_branch .LBB34_7
.LBB34_42:
	s_or_b64 exec, exec, s[30:31]
	v_pk_mov_b32 v[4:5], v[12:13], v[12:13] op_sel:[0,1]
	v_pk_mov_b32 v[8:9], v[14:15], v[14:15] op_sel:[0,1]
.LBB34_43:
	s_or_b64 exec, exec, s[24:25]
	s_nop 0
	v_mov_b32_dpp v0, v8 row_shr:1 row_mask:0xf bank_mask:0xf
	v_mov_b32_dpp v1, v9 row_shr:1 row_mask:0xf bank_mask:0xf
	v_add_f64 v[0:1], v[8:9], v[0:1]
	s_cmp_lg_u32 s14, 0
	s_nop 0
	v_mov_b32_dpp v2, v0 row_shr:2 row_mask:0xf bank_mask:0xf
	v_mov_b32_dpp v3, v1 row_shr:2 row_mask:0xf bank_mask:0xf
	v_add_f64 v[0:1], v[0:1], v[2:3]
	s_nop 1
	v_mov_b32_dpp v2, v0 row_shr:4 row_mask:0xf bank_mask:0xe
	v_mov_b32_dpp v3, v1 row_shr:4 row_mask:0xf bank_mask:0xe
	v_add_f64 v[0:1], v[0:1], v[2:3]
	;; [unrolled: 4-line block ×3, first 2 shown]
	s_nop 1
	v_mov_b32_dpp v2, v0 row_bcast:15 row_mask:0xa bank_mask:0xf
	v_mov_b32_dpp v3, v1 row_bcast:15 row_mask:0xa bank_mask:0xf
	v_add_f64 v[0:1], v[0:1], v[2:3]
	v_mov_b32_dpp v2, v4 row_shr:1 row_mask:0xf bank_mask:0xf
	v_mov_b32_dpp v3, v5 row_shr:1 row_mask:0xf bank_mask:0xf
	v_add_f64 v[2:3], v[4:5], v[2:3]
	s_nop 1
	v_mov_b32_dpp v4, v2 row_shr:2 row_mask:0xf bank_mask:0xf
	v_mov_b32_dpp v5, v3 row_shr:2 row_mask:0xf bank_mask:0xf
	v_add_f64 v[2:3], v[2:3], v[4:5]
	s_nop 1
	;; [unrolled: 4-line block ×4, first 2 shown]
	v_mov_b32_dpp v4, v2 row_bcast:15 row_mask:0xa bank_mask:0xf
	v_mov_b32_dpp v5, v3 row_bcast:15 row_mask:0xa bank_mask:0xf
	v_add_f64 v[2:3], v[2:3], v[4:5]
	s_cbranch_scc0 .LBB34_47
; %bb.44:
	v_cmp_eq_u32_e32 vcc, 31, v16
	s_and_saveexec_b64 s[0:1], vcc
	s_cbranch_execz .LBB34_46
.LBB34_45:
	s_lshl_b64 s[0:1], s[20:21], 4
	s_add_u32 s0, s8, s0
	s_addc_u32 s1, s9, s1
	s_lshl_b64 s[2:3], s[20:21], 2
	v_mov_b32_e32 v4, 0
	s_add_u32 s2, s10, s2
	s_addc_u32 s3, s11, s3
	global_store_dwordx4 v4, v[0:3], s[0:1] glc slc
	s_nop 0
	v_mov_b32_e32 v0, 1
	s_waitcnt vmcnt(0)
	global_store_dword v4, v0, s[2:3]
.LBB34_46:
	s_endpgm
.LBB34_47:
	s_lshl_b32 s0, s15, 4
	v_mov_b32_e32 v4, s0
	s_waitcnt lgkmcnt(0)
	ds_read_b128 v[4:7], v4
	s_waitcnt lgkmcnt(0)
	v_mul_f64 v[8:9], v[6:7], -v[2:3]
	v_mul_f64 v[6:7], v[0:1], v[6:7]
	v_fmac_f64_e32 v[8:9], v[0:1], v[4:5]
	v_fmac_f64_e32 v[6:7], v[2:3], v[4:5]
	v_pk_mov_b32 v[0:1], v[8:9], v[8:9] op_sel:[0,1]
	v_pk_mov_b32 v[2:3], v[6:7], v[6:7] op_sel:[0,1]
	v_cmp_eq_u32_e32 vcc, 31, v16
	s_and_saveexec_b64 s[0:1], vcc
	s_cbranch_execnz .LBB34_45
	s_branch .LBB34_46
	.section	.rodata,"a",@progbits
	.p2align	6, 0x0
	.amdhsa_kernel _ZN9rocsparseL12csrsv_kernelILj1024ELj32ELb0Ell21rocsparse_complex_numIdEEEvT3_NS_24const_host_device_scalarIT4_EEPKT2_PKS3_PKS5_SD_lPS5_PiSB_iPS3_21rocsparse_index_base_20rocsparse_fill_mode_20rocsparse_diag_type_b
		.amdhsa_group_segment_fixed_size 8704
		.amdhsa_private_segment_fixed_size 0
		.amdhsa_kernarg_size 120
		.amdhsa_user_sgpr_count 8
		.amdhsa_user_sgpr_private_segment_buffer 1
		.amdhsa_user_sgpr_dispatch_ptr 1
		.amdhsa_user_sgpr_queue_ptr 0
		.amdhsa_user_sgpr_kernarg_segment_ptr 1
		.amdhsa_user_sgpr_dispatch_id 0
		.amdhsa_user_sgpr_flat_scratch_init 0
		.amdhsa_user_sgpr_kernarg_preload_length 0
		.amdhsa_user_sgpr_kernarg_preload_offset 0
		.amdhsa_user_sgpr_private_segment_size 0
		.amdhsa_uses_dynamic_stack 0
		.amdhsa_system_sgpr_private_segment_wavefront_offset 0
		.amdhsa_system_sgpr_workgroup_id_x 1
		.amdhsa_system_sgpr_workgroup_id_y 0
		.amdhsa_system_sgpr_workgroup_id_z 0
		.amdhsa_system_sgpr_workgroup_info 0
		.amdhsa_system_vgpr_workitem_id 2
		.amdhsa_next_free_vgpr 28
		.amdhsa_next_free_sgpr 40
		.amdhsa_accum_offset 28
		.amdhsa_reserve_vcc 1
		.amdhsa_reserve_flat_scratch 0
		.amdhsa_float_round_mode_32 0
		.amdhsa_float_round_mode_16_64 0
		.amdhsa_float_denorm_mode_32 3
		.amdhsa_float_denorm_mode_16_64 3
		.amdhsa_dx10_clamp 1
		.amdhsa_ieee_mode 1
		.amdhsa_fp16_overflow 0
		.amdhsa_tg_split 0
		.amdhsa_exception_fp_ieee_invalid_op 0
		.amdhsa_exception_fp_denorm_src 0
		.amdhsa_exception_fp_ieee_div_zero 0
		.amdhsa_exception_fp_ieee_overflow 0
		.amdhsa_exception_fp_ieee_underflow 0
		.amdhsa_exception_fp_ieee_inexact 0
		.amdhsa_exception_int_div_zero 0
	.end_amdhsa_kernel
	.section	.text._ZN9rocsparseL12csrsv_kernelILj1024ELj32ELb0Ell21rocsparse_complex_numIdEEEvT3_NS_24const_host_device_scalarIT4_EEPKT2_PKS3_PKS5_SD_lPS5_PiSB_iPS3_21rocsparse_index_base_20rocsparse_fill_mode_20rocsparse_diag_type_b,"axG",@progbits,_ZN9rocsparseL12csrsv_kernelILj1024ELj32ELb0Ell21rocsparse_complex_numIdEEEvT3_NS_24const_host_device_scalarIT4_EEPKT2_PKS3_PKS5_SD_lPS5_PiSB_iPS3_21rocsparse_index_base_20rocsparse_fill_mode_20rocsparse_diag_type_b,comdat
.Lfunc_end34:
	.size	_ZN9rocsparseL12csrsv_kernelILj1024ELj32ELb0Ell21rocsparse_complex_numIdEEEvT3_NS_24const_host_device_scalarIT4_EEPKT2_PKS3_PKS5_SD_lPS5_PiSB_iPS3_21rocsparse_index_base_20rocsparse_fill_mode_20rocsparse_diag_type_b, .Lfunc_end34-_ZN9rocsparseL12csrsv_kernelILj1024ELj32ELb0Ell21rocsparse_complex_numIdEEEvT3_NS_24const_host_device_scalarIT4_EEPKT2_PKS3_PKS5_SD_lPS5_PiSB_iPS3_21rocsparse_index_base_20rocsparse_fill_mode_20rocsparse_diag_type_b
                                        ; -- End function
	.section	.AMDGPU.csdata,"",@progbits
; Kernel info:
; codeLenInByte = 2000
; NumSgprs: 44
; NumVgprs: 28
; NumAgprs: 0
; TotalNumVgprs: 28
; ScratchSize: 0
; MemoryBound: 0
; FloatMode: 240
; IeeeMode: 1
; LDSByteSize: 8704 bytes/workgroup (compile time only)
; SGPRBlocks: 5
; VGPRBlocks: 3
; NumSGPRsForWavesPerEU: 44
; NumVGPRsForWavesPerEU: 28
; AccumOffset: 28
; Occupancy: 8
; WaveLimiterHint : 1
; COMPUTE_PGM_RSRC2:SCRATCH_EN: 0
; COMPUTE_PGM_RSRC2:USER_SGPR: 8
; COMPUTE_PGM_RSRC2:TRAP_HANDLER: 0
; COMPUTE_PGM_RSRC2:TGID_X_EN: 1
; COMPUTE_PGM_RSRC2:TGID_Y_EN: 0
; COMPUTE_PGM_RSRC2:TGID_Z_EN: 0
; COMPUTE_PGM_RSRC2:TIDIG_COMP_CNT: 2
; COMPUTE_PGM_RSRC3_GFX90A:ACCUM_OFFSET: 6
; COMPUTE_PGM_RSRC3_GFX90A:TG_SPLIT: 0
	.section	.text._ZN9rocsparseL12csrsv_kernelILj1024ELj64ELb0Ell21rocsparse_complex_numIdEEEvT3_NS_24const_host_device_scalarIT4_EEPKT2_PKS3_PKS5_SD_lPS5_PiSB_iPS3_21rocsparse_index_base_20rocsparse_fill_mode_20rocsparse_diag_type_b,"axG",@progbits,_ZN9rocsparseL12csrsv_kernelILj1024ELj64ELb0Ell21rocsparse_complex_numIdEEEvT3_NS_24const_host_device_scalarIT4_EEPKT2_PKS3_PKS5_SD_lPS5_PiSB_iPS3_21rocsparse_index_base_20rocsparse_fill_mode_20rocsparse_diag_type_b,comdat
	.globl	_ZN9rocsparseL12csrsv_kernelILj1024ELj64ELb0Ell21rocsparse_complex_numIdEEEvT3_NS_24const_host_device_scalarIT4_EEPKT2_PKS3_PKS5_SD_lPS5_PiSB_iPS3_21rocsparse_index_base_20rocsparse_fill_mode_20rocsparse_diag_type_b ; -- Begin function _ZN9rocsparseL12csrsv_kernelILj1024ELj64ELb0Ell21rocsparse_complex_numIdEEEvT3_NS_24const_host_device_scalarIT4_EEPKT2_PKS3_PKS5_SD_lPS5_PiSB_iPS3_21rocsparse_index_base_20rocsparse_fill_mode_20rocsparse_diag_type_b
	.p2align	8
	.type	_ZN9rocsparseL12csrsv_kernelILj1024ELj64ELb0Ell21rocsparse_complex_numIdEEEvT3_NS_24const_host_device_scalarIT4_EEPKT2_PKS3_PKS5_SD_lPS5_PiSB_iPS3_21rocsparse_index_base_20rocsparse_fill_mode_20rocsparse_diag_type_b,@function
_ZN9rocsparseL12csrsv_kernelILj1024ELj64ELb0Ell21rocsparse_complex_numIdEEEvT3_NS_24const_host_device_scalarIT4_EEPKT2_PKS3_PKS5_SD_lPS5_PiSB_iPS3_21rocsparse_index_base_20rocsparse_fill_mode_20rocsparse_diag_type_b: ; @_ZN9rocsparseL12csrsv_kernelILj1024ELj64ELb0Ell21rocsparse_complex_numIdEEEvT3_NS_24const_host_device_scalarIT4_EEPKT2_PKS3_PKS5_SD_lPS5_PiSB_iPS3_21rocsparse_index_base_20rocsparse_fill_mode_20rocsparse_diag_type_b
; %bb.0:
	s_load_dwordx4 s[12:15], s[6:7], 0x68
	s_load_dwordx2 s[10:11], s[4:5], 0x4
	s_load_dwordx4 s[0:3], s[6:7], 0x0
	s_load_dwordx2 s[16:17], s[6:7], 0x10
	v_and_b32_e32 v4, 0x3ff, v0
	v_bfe_u32 v2, v0, 10, 10
	s_waitcnt lgkmcnt(0)
	s_lshr_b32 s5, s10, 16
	s_mul_i32 s5, s5, s11
	v_mul_lo_u32 v1, s5, v4
	s_and_b32 s4, 1, s15
	v_mad_u32_u24 v1, v2, s11, v1
	v_bfe_u32 v0, v0, 20, 10
	s_cmp_eq_u32 s4, 1
	v_add_lshl_u32 v2, v1, v0, 3
	v_add_u32_e32 v3, 0x100, v2
	v_pk_mov_b32 v[0:1], s[2:3], s[2:3] op_sel:[0,1]
	s_cselect_b64 vcc, -1, 0
	ds_write_b64 v2, v[0:1] offset:256
	s_mov_b64 s[4:5], src_shared_base
	v_cndmask_b32_e32 v0, v0, v3, vcc
	s_and_b64 vcc, vcc, exec
	s_cselect_b32 s4, s5, s3
	v_mov_b32_e32 v1, s4
	flat_load_dwordx2 v[0:1], v[0:1]
	v_pk_mov_b32 v[2:3], s[16:17], s[16:17] op_sel:[0,1]
	s_cbranch_vccnz .LBB35_2
; %bb.1:
	v_pk_mov_b32 v[2:3], s[2:3], s[2:3] op_sel:[0,1]
	flat_load_dwordx2 v[2:3], v[2:3] offset:8
.LBB35_2:
	v_lshrrev_b32_e32 v5, 6, v4
	v_mov_b32_e32 v6, s0
	v_readfirstlane_b32 s15, v5
	s_lshl_b32 s0, s8, 4
	v_mov_b32_e32 v7, s1
	s_add_i32 s0, s15, s0
	s_mov_b32 s1, 0
	v_cmp_ge_i64_e32 vcc, s[0:1], v[6:7]
	s_cbranch_vccnz .LBB35_46
; %bb.3:
	s_load_dword s2, s[6:7], 0x58
	s_load_dwordx2 s[4:5], s[6:7], 0x50
	s_lshl_b64 s[0:1], s[0:1], 3
	v_and_b32_e32 v16, 63, v4
	v_pk_mov_b32 v[8:9], 0, 0
	s_waitcnt lgkmcnt(0)
	s_ashr_i32 s3, s2, 31
	s_add_u32 s4, s4, s0
	s_addc_u32 s5, s5, s1
	s_lshl_b64 s[0:1], s[2:3], 3
	s_add_u32 s0, s4, s0
	s_addc_u32 s1, s5, s1
	s_load_dwordx2 s[20:21], s[0:1], 0x0
	s_load_dwordx2 s[2:3], s[6:7], 0x18
	s_load_dwordx4 s[8:11], s[6:7], 0x40
	v_cmp_eq_u32_e32 vcc, 0, v16
	v_pk_mov_b32 v[4:5], v[8:9], v[8:9] op_sel:[0,1]
	s_waitcnt lgkmcnt(0)
	s_lshl_b64 s[0:1], s[20:21], 3
	s_add_u32 s0, s2, s0
	s_addc_u32 s1, s3, s1
	s_load_dwordx4 s[0:3], s[0:1], 0x0
	s_and_saveexec_b64 s[4:5], vcc
	s_cbranch_execz .LBB35_5
; %bb.4:
	s_load_dwordx4 s[16:19], s[6:7], 0x30
	s_waitcnt lgkmcnt(0)
	s_mul_i32 s19, s20, s19
	s_mul_hi_u32 s22, s20, s18
	s_mul_i32 s23, s21, s18
	s_add_i32 s19, s22, s19
	s_mul_i32 s18, s20, s18
	s_add_i32 s19, s19, s23
	s_lshl_b64 s[18:19], s[18:19], 4
	s_add_u32 s16, s16, s18
	s_addc_u32 s17, s17, s19
	s_load_dwordx4 s[16:19], s[16:17], 0x0
	s_waitcnt vmcnt(0) lgkmcnt(0)
	v_mul_f64 v[8:9], s[18:19], -v[2:3]
	v_mul_f64 v[4:5], v[0:1], s[18:19]
	v_fmac_f64_e32 v[8:9], s[16:17], v[0:1]
	v_fmac_f64_e32 v[4:5], s[16:17], v[2:3]
.LBB35_5:
	s_or_b64 exec, exec, s[4:5]
	s_waitcnt lgkmcnt(0)
	s_sub_u32 s22, s2, s12
	s_waitcnt vmcnt(0)
	v_subrev_co_u32_e32 v0, vcc, s12, v16
	s_subb_u32 s23, s3, 0
	v_subb_co_u32_e64 v1, s[2:3], 0, 0, vcc
	v_mov_b32_e32 v2, s1
	v_add_co_u32_e32 v6, vcc, s0, v0
	v_addc_co_u32_e32 v7, vcc, v2, v1, vcc
	s_mov_b32 s4, 0
	v_cmp_gt_i64_e32 vcc, s[22:23], v[6:7]
	s_and_saveexec_b64 s[24:25], vcc
	s_cbranch_execz .LBB35_43
; %bb.6:
	s_load_dwordx2 s[26:27], s[6:7], 0x60
	s_load_dwordx4 s[16:19], s[6:7], 0x20
	s_cmp_eq_u32 s14, 0
	s_cselect_b64 s[6:7], -1, 0
	s_add_u32 s28, s20, s12
	v_cndmask_b32_e64 v0, 0, 1, s[6:7]
	s_mov_b32 s33, s12
	s_addc_u32 s29, s21, 0
	s_lshl_b32 s12, s15, 4
	s_mov_b64 s[30:31], 0
	s_waitcnt lgkmcnt(0)
	v_mov_b32_e32 v17, s17
	v_mov_b32_e32 v18, s4
	;; [unrolled: 1-line block ×4, first 2 shown]
	v_cmp_ne_u32_e64 s[0:1], 1, v0
	s_branch .LBB35_8
.LBB35_7:                               ;   in Loop: Header=BB35_8 Depth=1
	s_or_b64 exec, exec, s[34:35]
	s_and_b64 s[2:3], exec, s[2:3]
	s_or_b64 s[30:31], s[2:3], s[30:31]
	v_pk_mov_b32 v[4:5], v[12:13], v[12:13] op_sel:[0,1]
	v_pk_mov_b32 v[8:9], v[14:15], v[14:15] op_sel:[0,1]
	s_andn2_b64 exec, exec, s[30:31]
	s_cbranch_execz .LBB35_42
.LBB35_8:                               ; =>This Loop Header: Depth=1
                                        ;     Child Loop BB35_33 Depth 2
	v_lshlrev_b64 v[0:1], 3, v[6:7]
	v_add_co_u32_e32 v0, vcc, s16, v0
	v_addc_co_u32_e32 v1, vcc, v17, v1, vcc
	global_load_dwordx2 v[10:11], v[0:1], off glc slc
	v_lshlrev_b64 v[0:1], 4, v[6:7]
	v_add_co_u32_e32 v0, vcc, s18, v0
	v_addc_co_u32_e32 v1, vcc, v19, v1, vcc
	global_load_dwordx4 v[0:3], v[0:1], off glc slc
	s_waitcnt vmcnt(1)
	v_subrev_co_u32_e32 v10, vcc, s33, v10
	v_subb_co_u32_e32 v11, vcc, v11, v18, vcc
	s_waitcnt vmcnt(0)
	v_cmp_eq_f64_e32 vcc, 0, v[0:1]
	v_cmp_eq_f64_e64 s[2:3], 0, v[2:3]
	s_and_b64 s[2:3], vcc, s[2:3]
	v_cmp_eq_u64_e32 vcc, s[20:21], v[10:11]
	s_and_b64 s[2:3], s[2:3], vcc
	s_and_b64 s[2:3], s[6:7], s[2:3]
	s_and_saveexec_b64 s[4:5], s[2:3]
	s_cbranch_execz .LBB35_12
; %bb.9:                                ;   in Loop: Header=BB35_8 Depth=1
	v_mbcnt_lo_u32_b32 v0, exec_lo, 0
	v_mbcnt_hi_u32_b32 v0, exec_hi, v0
	v_cmp_eq_u32_e64 s[2:3], 0, v0
	s_and_saveexec_b64 s[34:35], s[2:3]
	s_cbranch_execz .LBB35_11
; %bb.10:                               ;   in Loop: Header=BB35_8 Depth=1
	v_pk_mov_b32 v[0:1], s[28:29], s[28:29] op_sel:[0,1]
	global_atomic_umin_x2 v20, v[0:1], s[26:27]
.LBB35_11:                              ;   in Loop: Header=BB35_8 Depth=1
	s_or_b64 exec, exec, s[34:35]
	v_mov_b32_e32 v0, 0
	v_mov_b32_e32 v1, 0x3ff00000
	v_pk_mov_b32 v[2:3], 0, 0
.LBB35_12:                              ;   in Loop: Header=BB35_8 Depth=1
	s_or_b64 exec, exec, s[4:5]
	v_cmp_ne_u64_e64 s[2:3], s[20:21], v[10:11]
	s_cmp_lt_i32 s13, 1
	s_mov_b64 s[34:35], 0
	s_cbranch_scc1 .LBB35_21
; %bb.13:                               ;   in Loop: Header=BB35_8 Depth=1
	s_cmp_eq_u32 s13, 1
	s_cbranch_scc0 .LBB35_22
; %bb.14:                               ;   in Loop: Header=BB35_8 Depth=1
	v_cmp_le_i64_e64 s[4:5], s[20:21], v[10:11]
	s_mov_b64 s[36:37], 0
	s_and_saveexec_b64 s[38:39], s[4:5]
	s_cbranch_execz .LBB35_20
; %bb.15:                               ;   in Loop: Header=BB35_8 Depth=1
	s_mov_b64 s[36:37], -1
	s_and_saveexec_b64 s[4:5], vcc
	s_xor_b64 s[4:5], exec, s[4:5]
	s_cbranch_execz .LBB35_19
; %bb.16:                               ;   in Loop: Header=BB35_8 Depth=1
	s_and_b64 vcc, exec, s[0:1]
	s_cbranch_vccnz .LBB35_18
; %bb.17:                               ;   in Loop: Header=BB35_8 Depth=1
	v_mul_f64 v[12:13], v[2:3], v[2:3]
	v_fmac_f64_e32 v[12:13], v[0:1], v[0:1]
	v_div_scale_f64 v[14:15], s[36:37], v[12:13], v[12:13], 1.0
	v_rcp_f64_e32 v[22:23], v[14:15]
	v_div_scale_f64 v[24:25], vcc, 1.0, v[12:13], 1.0
	v_mov_b32_e32 v21, s12
	v_fma_f64 v[26:27], -v[14:15], v[22:23], 1.0
	v_fmac_f64_e32 v[22:23], v[22:23], v[26:27]
	v_fma_f64 v[26:27], -v[14:15], v[22:23], 1.0
	v_fmac_f64_e32 v[22:23], v[22:23], v[26:27]
	v_mul_f64 v[26:27], v[24:25], v[22:23]
	v_fma_f64 v[14:15], -v[14:15], v[26:27], v[24:25]
	v_div_fmas_f64 v[14:15], v[14:15], v[22:23], v[26:27]
	v_div_fixup_f64 v[14:15], v[14:15], v[12:13], 1.0
	v_fma_f64 v[12:13], 0, v[2:3], v[0:1]
	v_fma_f64 v[22:23], v[0:1], 0, -v[2:3]
	v_mul_f64 v[12:13], v[12:13], v[14:15]
	v_mul_f64 v[14:15], v[22:23], v[14:15]
	ds_write_b128 v21, v[12:15]
.LBB35_18:                              ;   in Loop: Header=BB35_8 Depth=1
	s_xor_b64 s[36:37], exec, -1
.LBB35_19:                              ;   in Loop: Header=BB35_8 Depth=1
	s_or_b64 exec, exec, s[4:5]
	s_and_b64 s[36:37], s[36:37], exec
.LBB35_20:                              ;   in Loop: Header=BB35_8 Depth=1
	s_or_b64 exec, exec, s[38:39]
	s_mov_b32 s17, 4
	v_pk_mov_b32 v[12:13], v[4:5], v[4:5] op_sel:[0,1]
	v_pk_mov_b32 v[14:15], v[8:9], v[8:9] op_sel:[0,1]
	s_branch .LBB35_23
.LBB35_21:                              ;   in Loop: Header=BB35_8 Depth=1
	s_mov_b64 s[36:37], 0
                                        ; implicit-def: $sgpr17
                                        ; implicit-def: $vgpr12_vgpr13
                                        ; implicit-def: $vgpr14_vgpr15
	s_cbranch_execnz .LBB35_24
	s_branch .LBB35_26
.LBB35_22:                              ;   in Loop: Header=BB35_8 Depth=1
	s_mov_b64 s[36:37], -1
                                        ; implicit-def: $sgpr17
                                        ; implicit-def: $vgpr12_vgpr13
                                        ; implicit-def: $vgpr14_vgpr15
.LBB35_23:                              ;   in Loop: Header=BB35_8 Depth=1
	s_branch .LBB35_26
.LBB35_24:                              ;   in Loop: Header=BB35_8 Depth=1
	s_cmp_eq_u32 s13, 0
	s_cbranch_scc1 .LBB35_28
; %bb.25:                               ;   in Loop: Header=BB35_8 Depth=1
	s_mov_b64 s[36:37], -1
                                        ; implicit-def: $sgpr17
                                        ; implicit-def: $vgpr12_vgpr13
                                        ; implicit-def: $vgpr14_vgpr15
.LBB35_26:                              ;   in Loop: Header=BB35_8 Depth=1
	v_mov_b32_e32 v21, s17
	s_and_saveexec_b64 s[2:3], s[36:37]
	s_cbranch_execnz .LBB35_31
.LBB35_27:                              ;   in Loop: Header=BB35_8 Depth=1
	s_or_b64 exec, exec, s[2:3]
	s_and_saveexec_b64 s[2:3], s[34:35]
	s_cbranch_execnz .LBB35_35
	s_branch .LBB35_38
.LBB35_28:                              ;   in Loop: Header=BB35_8 Depth=1
	v_cmp_ge_i64_e32 vcc, s[20:21], v[10:11]
	s_mov_b64 s[36:37], 0
	s_and_saveexec_b64 s[4:5], vcc
; %bb.29:                               ;   in Loop: Header=BB35_8 Depth=1
	s_mov_b64 s[34:35], exec
	s_and_b64 s[36:37], s[2:3], exec
; %bb.30:                               ;   in Loop: Header=BB35_8 Depth=1
	s_or_b64 exec, exec, s[4:5]
	s_mov_b32 s17, 2
	v_pk_mov_b32 v[12:13], v[4:5], v[4:5] op_sel:[0,1]
	v_pk_mov_b32 v[14:15], v[8:9], v[8:9] op_sel:[0,1]
	v_mov_b32_e32 v21, s17
	s_and_saveexec_b64 s[2:3], s[36:37]
	s_cbranch_execz .LBB35_27
.LBB35_31:                              ;   in Loop: Header=BB35_8 Depth=1
	v_lshlrev_b64 v[12:13], 2, v[10:11]
	v_mov_b32_e32 v14, s11
	v_add_co_u32_e32 v12, vcc, s10, v12
	v_addc_co_u32_e32 v13, vcc, v14, v13, vcc
	global_load_dword v14, v[12:13], off glc
	s_waitcnt vmcnt(0)
	v_cmp_eq_u32_e32 vcc, 0, v14
	s_and_saveexec_b64 s[4:5], vcc
	s_cbranch_execz .LBB35_34
; %bb.32:                               ;   in Loop: Header=BB35_8 Depth=1
	s_mov_b64 s[36:37], 0
.LBB35_33:                              ;   Parent Loop BB35_8 Depth=1
                                        ; =>  This Inner Loop Header: Depth=2
	global_load_dword v14, v[12:13], off glc
	s_waitcnt vmcnt(0)
	v_cmp_ne_u32_e32 vcc, 0, v14
	s_or_b64 s[36:37], vcc, s[36:37]
	s_andn2_b64 exec, exec, s[36:37]
	s_cbranch_execnz .LBB35_33
.LBB35_34:                              ;   in Loop: Header=BB35_8 Depth=1
	s_or_b64 exec, exec, s[4:5]
	v_lshlrev_b64 v[10:11], 4, v[10:11]
	v_mov_b32_e32 v12, s9
	v_add_co_u32_e32 v10, vcc, s8, v10
	v_addc_co_u32_e32 v11, vcc, v12, v11, vcc
	s_waitcnt lgkmcnt(0)
	buffer_wbinvl1_vol
	global_load_dwordx4 v[10:13], v[10:11], off
	v_mov_b32_e32 v21, 0
	s_andn2_b64 s[34:35], s[34:35], exec
	s_waitcnt vmcnt(0)
	v_fma_f64 v[14:15], -v[0:1], v[10:11], v[8:9]
	v_fma_f64 v[10:11], -v[2:3], v[10:11], v[4:5]
	v_fmac_f64_e32 v[14:15], v[2:3], v[12:13]
	v_fma_f64 v[12:13], -v[0:1], v[12:13], v[10:11]
	s_or_b64 exec, exec, s[2:3]
	s_and_saveexec_b64 s[2:3], s[34:35]
	s_cbranch_execz .LBB35_38
.LBB35_35:                              ;   in Loop: Header=BB35_8 Depth=1
	s_and_b64 vcc, exec, s[0:1]
	s_cbranch_vccnz .LBB35_37
; %bb.36:                               ;   in Loop: Header=BB35_8 Depth=1
	v_mul_f64 v[10:11], v[2:3], v[2:3]
	v_fmac_f64_e32 v[10:11], v[0:1], v[0:1]
	v_div_scale_f64 v[12:13], s[4:5], v[10:11], v[10:11], 1.0
	v_rcp_f64_e32 v[14:15], v[12:13]
	v_div_scale_f64 v[22:23], vcc, 1.0, v[10:11], 1.0
	v_fma_f64 v[24:25], -v[12:13], v[14:15], 1.0
	v_fmac_f64_e32 v[14:15], v[14:15], v[24:25]
	v_fma_f64 v[24:25], -v[12:13], v[14:15], 1.0
	v_fmac_f64_e32 v[14:15], v[14:15], v[24:25]
	v_mul_f64 v[24:25], v[22:23], v[14:15]
	v_fma_f64 v[12:13], -v[12:13], v[24:25], v[22:23]
	v_div_fmas_f64 v[12:13], v[12:13], v[14:15], v[24:25]
	v_div_fixup_f64 v[12:13], v[12:13], v[10:11], 1.0
	v_fma_f64 v[10:11], 0, v[2:3], v[0:1]
	v_fma_f64 v[0:1], v[0:1], 0, -v[2:3]
	v_mul_f64 v[10:11], v[10:11], v[12:13]
	v_mul_f64 v[12:13], v[0:1], v[12:13]
	v_mov_b32_e32 v0, s12
	ds_write_b128 v0, v[10:13]
.LBB35_37:                              ;   in Loop: Header=BB35_8 Depth=1
	v_mov_b32_e32 v21, 2
	v_pk_mov_b32 v[14:15], v[8:9], v[8:9] op_sel:[0,1]
	v_pk_mov_b32 v[12:13], v[4:5], v[4:5] op_sel:[0,1]
.LBB35_38:                              ;   in Loop: Header=BB35_8 Depth=1
	s_or_b64 exec, exec, s[2:3]
	v_cmp_gt_i32_e32 vcc, 4, v21
	s_mov_b64 s[2:3], -1
	s_mov_b64 s[4:5], -1
	s_and_saveexec_b64 s[34:35], vcc
; %bb.39:                               ;   in Loop: Header=BB35_8 Depth=1
	v_cmp_eq_u32_e32 vcc, 0, v21
	s_orn2_b64 s[4:5], vcc, exec
; %bb.40:                               ;   in Loop: Header=BB35_8 Depth=1
	s_or_b64 exec, exec, s[34:35]
	s_and_saveexec_b64 s[34:35], s[4:5]
	s_cbranch_execz .LBB35_7
; %bb.41:                               ;   in Loop: Header=BB35_8 Depth=1
	v_add_co_u32_e32 v6, vcc, 64, v6
	v_addc_co_u32_e32 v7, vcc, 0, v7, vcc
	v_cmp_le_i64_e32 vcc, s[22:23], v[6:7]
	s_orn2_b64 s[2:3], vcc, exec
	s_branch .LBB35_7
.LBB35_42:
	s_or_b64 exec, exec, s[30:31]
	v_pk_mov_b32 v[4:5], v[12:13], v[12:13] op_sel:[0,1]
	v_pk_mov_b32 v[8:9], v[14:15], v[14:15] op_sel:[0,1]
.LBB35_43:
	s_or_b64 exec, exec, s[24:25]
	s_nop 0
	v_mov_b32_dpp v0, v8 row_shr:1 row_mask:0xf bank_mask:0xf
	v_mov_b32_dpp v1, v9 row_shr:1 row_mask:0xf bank_mask:0xf
	v_add_f64 v[0:1], v[8:9], v[0:1]
	s_cmp_lg_u32 s14, 0
	s_nop 0
	v_mov_b32_dpp v2, v0 row_shr:2 row_mask:0xf bank_mask:0xf
	v_mov_b32_dpp v3, v1 row_shr:2 row_mask:0xf bank_mask:0xf
	v_add_f64 v[0:1], v[0:1], v[2:3]
	s_nop 1
	v_mov_b32_dpp v2, v0 row_shr:4 row_mask:0xf bank_mask:0xe
	v_mov_b32_dpp v3, v1 row_shr:4 row_mask:0xf bank_mask:0xe
	v_add_f64 v[0:1], v[0:1], v[2:3]
	;; [unrolled: 4-line block ×3, first 2 shown]
	s_nop 1
	v_mov_b32_dpp v2, v0 row_bcast:15 row_mask:0xa bank_mask:0xf
	v_mov_b32_dpp v3, v1 row_bcast:15 row_mask:0xa bank_mask:0xf
	v_add_f64 v[0:1], v[0:1], v[2:3]
	s_nop 1
	v_mov_b32_dpp v2, v0 row_bcast:31 row_mask:0xc bank_mask:0xf
	v_mov_b32_dpp v3, v1 row_bcast:31 row_mask:0xc bank_mask:0xf
	v_add_f64 v[0:1], v[0:1], v[2:3]
	v_mov_b32_dpp v2, v4 row_shr:1 row_mask:0xf bank_mask:0xf
	v_mov_b32_dpp v3, v5 row_shr:1 row_mask:0xf bank_mask:0xf
	v_add_f64 v[2:3], v[4:5], v[2:3]
	s_nop 1
	v_mov_b32_dpp v4, v2 row_shr:2 row_mask:0xf bank_mask:0xf
	v_mov_b32_dpp v5, v3 row_shr:2 row_mask:0xf bank_mask:0xf
	v_add_f64 v[2:3], v[2:3], v[4:5]
	s_nop 1
	;; [unrolled: 4-line block ×4, first 2 shown]
	v_mov_b32_dpp v4, v2 row_bcast:15 row_mask:0xa bank_mask:0xf
	v_mov_b32_dpp v5, v3 row_bcast:15 row_mask:0xa bank_mask:0xf
	v_add_f64 v[2:3], v[2:3], v[4:5]
	s_nop 1
	v_mov_b32_dpp v4, v2 row_bcast:31 row_mask:0xc bank_mask:0xf
	v_mov_b32_dpp v5, v3 row_bcast:31 row_mask:0xc bank_mask:0xf
	v_add_f64 v[2:3], v[2:3], v[4:5]
	s_cbranch_scc0 .LBB35_47
; %bb.44:
	v_cmp_eq_u32_e32 vcc, 63, v16
	s_and_saveexec_b64 s[0:1], vcc
	s_cbranch_execz .LBB35_46
.LBB35_45:
	s_lshl_b64 s[0:1], s[20:21], 4
	s_add_u32 s0, s8, s0
	s_addc_u32 s1, s9, s1
	s_lshl_b64 s[2:3], s[20:21], 2
	v_mov_b32_e32 v4, 0
	s_add_u32 s2, s10, s2
	s_addc_u32 s3, s11, s3
	global_store_dwordx4 v4, v[0:3], s[0:1] glc slc
	s_nop 0
	v_mov_b32_e32 v0, 1
	s_waitcnt vmcnt(0)
	global_store_dword v4, v0, s[2:3]
.LBB35_46:
	s_endpgm
.LBB35_47:
	s_lshl_b32 s0, s15, 4
	v_mov_b32_e32 v4, s0
	s_waitcnt lgkmcnt(0)
	ds_read_b128 v[4:7], v4
	s_waitcnt lgkmcnt(0)
	v_mul_f64 v[8:9], v[6:7], -v[2:3]
	v_mul_f64 v[6:7], v[0:1], v[6:7]
	v_fmac_f64_e32 v[8:9], v[0:1], v[4:5]
	v_fmac_f64_e32 v[6:7], v[2:3], v[4:5]
	v_pk_mov_b32 v[0:1], v[8:9], v[8:9] op_sel:[0,1]
	v_pk_mov_b32 v[2:3], v[6:7], v[6:7] op_sel:[0,1]
	v_cmp_eq_u32_e32 vcc, 63, v16
	s_and_saveexec_b64 s[0:1], vcc
	s_cbranch_execnz .LBB35_45
	s_branch .LBB35_46
	.section	.rodata,"a",@progbits
	.p2align	6, 0x0
	.amdhsa_kernel _ZN9rocsparseL12csrsv_kernelILj1024ELj64ELb0Ell21rocsparse_complex_numIdEEEvT3_NS_24const_host_device_scalarIT4_EEPKT2_PKS3_PKS5_SD_lPS5_PiSB_iPS3_21rocsparse_index_base_20rocsparse_fill_mode_20rocsparse_diag_type_b
		.amdhsa_group_segment_fixed_size 8448
		.amdhsa_private_segment_fixed_size 0
		.amdhsa_kernarg_size 120
		.amdhsa_user_sgpr_count 8
		.amdhsa_user_sgpr_private_segment_buffer 1
		.amdhsa_user_sgpr_dispatch_ptr 1
		.amdhsa_user_sgpr_queue_ptr 0
		.amdhsa_user_sgpr_kernarg_segment_ptr 1
		.amdhsa_user_sgpr_dispatch_id 0
		.amdhsa_user_sgpr_flat_scratch_init 0
		.amdhsa_user_sgpr_kernarg_preload_length 0
		.amdhsa_user_sgpr_kernarg_preload_offset 0
		.amdhsa_user_sgpr_private_segment_size 0
		.amdhsa_uses_dynamic_stack 0
		.amdhsa_system_sgpr_private_segment_wavefront_offset 0
		.amdhsa_system_sgpr_workgroup_id_x 1
		.amdhsa_system_sgpr_workgroup_id_y 0
		.amdhsa_system_sgpr_workgroup_id_z 0
		.amdhsa_system_sgpr_workgroup_info 0
		.amdhsa_system_vgpr_workitem_id 2
		.amdhsa_next_free_vgpr 28
		.amdhsa_next_free_sgpr 40
		.amdhsa_accum_offset 28
		.amdhsa_reserve_vcc 1
		.amdhsa_reserve_flat_scratch 0
		.amdhsa_float_round_mode_32 0
		.amdhsa_float_round_mode_16_64 0
		.amdhsa_float_denorm_mode_32 3
		.amdhsa_float_denorm_mode_16_64 3
		.amdhsa_dx10_clamp 1
		.amdhsa_ieee_mode 1
		.amdhsa_fp16_overflow 0
		.amdhsa_tg_split 0
		.amdhsa_exception_fp_ieee_invalid_op 0
		.amdhsa_exception_fp_denorm_src 0
		.amdhsa_exception_fp_ieee_div_zero 0
		.amdhsa_exception_fp_ieee_overflow 0
		.amdhsa_exception_fp_ieee_underflow 0
		.amdhsa_exception_fp_ieee_inexact 0
		.amdhsa_exception_int_div_zero 0
	.end_amdhsa_kernel
	.section	.text._ZN9rocsparseL12csrsv_kernelILj1024ELj64ELb0Ell21rocsparse_complex_numIdEEEvT3_NS_24const_host_device_scalarIT4_EEPKT2_PKS3_PKS5_SD_lPS5_PiSB_iPS3_21rocsparse_index_base_20rocsparse_fill_mode_20rocsparse_diag_type_b,"axG",@progbits,_ZN9rocsparseL12csrsv_kernelILj1024ELj64ELb0Ell21rocsparse_complex_numIdEEEvT3_NS_24const_host_device_scalarIT4_EEPKT2_PKS3_PKS5_SD_lPS5_PiSB_iPS3_21rocsparse_index_base_20rocsparse_fill_mode_20rocsparse_diag_type_b,comdat
.Lfunc_end35:
	.size	_ZN9rocsparseL12csrsv_kernelILj1024ELj64ELb0Ell21rocsparse_complex_numIdEEEvT3_NS_24const_host_device_scalarIT4_EEPKT2_PKS3_PKS5_SD_lPS5_PiSB_iPS3_21rocsparse_index_base_20rocsparse_fill_mode_20rocsparse_diag_type_b, .Lfunc_end35-_ZN9rocsparseL12csrsv_kernelILj1024ELj64ELb0Ell21rocsparse_complex_numIdEEEvT3_NS_24const_host_device_scalarIT4_EEPKT2_PKS3_PKS5_SD_lPS5_PiSB_iPS3_21rocsparse_index_base_20rocsparse_fill_mode_20rocsparse_diag_type_b
                                        ; -- End function
	.section	.AMDGPU.csdata,"",@progbits
; Kernel info:
; codeLenInByte = 2056
; NumSgprs: 44
; NumVgprs: 28
; NumAgprs: 0
; TotalNumVgprs: 28
; ScratchSize: 0
; MemoryBound: 0
; FloatMode: 240
; IeeeMode: 1
; LDSByteSize: 8448 bytes/workgroup (compile time only)
; SGPRBlocks: 5
; VGPRBlocks: 3
; NumSGPRsForWavesPerEU: 44
; NumVGPRsForWavesPerEU: 28
; AccumOffset: 28
; Occupancy: 8
; WaveLimiterHint : 1
; COMPUTE_PGM_RSRC2:SCRATCH_EN: 0
; COMPUTE_PGM_RSRC2:USER_SGPR: 8
; COMPUTE_PGM_RSRC2:TRAP_HANDLER: 0
; COMPUTE_PGM_RSRC2:TGID_X_EN: 1
; COMPUTE_PGM_RSRC2:TGID_Y_EN: 0
; COMPUTE_PGM_RSRC2:TGID_Z_EN: 0
; COMPUTE_PGM_RSRC2:TIDIG_COMP_CNT: 2
; COMPUTE_PGM_RSRC3_GFX90A:ACCUM_OFFSET: 6
; COMPUTE_PGM_RSRC3_GFX90A:TG_SPLIT: 0
	.section	.text._ZN9rocsparseL12csrsv_kernelILj1024ELj64ELb1EilfEEvT3_NS_24const_host_device_scalarIT4_EEPKT2_PKS1_PKS3_SB_lPS3_PiS9_iPS1_21rocsparse_index_base_20rocsparse_fill_mode_20rocsparse_diag_type_b,"axG",@progbits,_ZN9rocsparseL12csrsv_kernelILj1024ELj64ELb1EilfEEvT3_NS_24const_host_device_scalarIT4_EEPKT2_PKS1_PKS3_SB_lPS3_PiS9_iPS1_21rocsparse_index_base_20rocsparse_fill_mode_20rocsparse_diag_type_b,comdat
	.globl	_ZN9rocsparseL12csrsv_kernelILj1024ELj64ELb1EilfEEvT3_NS_24const_host_device_scalarIT4_EEPKT2_PKS1_PKS3_SB_lPS3_PiS9_iPS1_21rocsparse_index_base_20rocsparse_fill_mode_20rocsparse_diag_type_b ; -- Begin function _ZN9rocsparseL12csrsv_kernelILj1024ELj64ELb1EilfEEvT3_NS_24const_host_device_scalarIT4_EEPKT2_PKS1_PKS3_SB_lPS3_PiS9_iPS1_21rocsparse_index_base_20rocsparse_fill_mode_20rocsparse_diag_type_b
	.p2align	8
	.type	_ZN9rocsparseL12csrsv_kernelILj1024ELj64ELb1EilfEEvT3_NS_24const_host_device_scalarIT4_EEPKT2_PKS1_PKS3_SB_lPS3_PiS9_iPS1_21rocsparse_index_base_20rocsparse_fill_mode_20rocsparse_diag_type_b,@function
_ZN9rocsparseL12csrsv_kernelILj1024ELj64ELb1EilfEEvT3_NS_24const_host_device_scalarIT4_EEPKT2_PKS1_PKS3_SB_lPS3_PiS9_iPS1_21rocsparse_index_base_20rocsparse_fill_mode_20rocsparse_diag_type_b: ; @_ZN9rocsparseL12csrsv_kernelILj1024ELj64ELb1EilfEEvT3_NS_24const_host_device_scalarIT4_EEPKT2_PKS1_PKS3_SB_lPS3_PiS9_iPS1_21rocsparse_index_base_20rocsparse_fill_mode_20rocsparse_diag_type_b
; %bb.0:
	s_load_dwordx4 s[8:11], s[4:5], 0x60
	s_load_dwordx4 s[0:3], s[4:5], 0x0
	s_waitcnt lgkmcnt(0)
	s_bitcmp1_b32 s11, 0
	s_cselect_b64 s[12:13], -1, 0
	s_and_b64 vcc, exec, s[12:13]
	s_cbranch_vccnz .LBB36_2
; %bb.1:
	s_load_dword s2, s[2:3], 0x0
.LBB36_2:
	v_lshrrev_b32_e32 v1, 6, v0
	v_mov_b32_e32 v2, s0
	v_readfirstlane_b32 s11, v1
	s_lshl_b32 s0, s6, 4
	v_mov_b32_e32 v3, s1
	s_add_i32 s0, s11, s0
	s_mov_b32 s1, 0
	v_cmp_ge_i64_e32 vcc, s[0:1], v[2:3]
	s_cbranch_vccnz .LBB36_48
; %bb.3:
	s_load_dword s6, s[4:5], 0x50
	s_load_dwordx2 s[12:13], s[4:5], 0x48
	s_lshl_b64 s[0:1], s[0:1], 3
	v_and_b32_e32 v6, 63, v0
	v_cmp_eq_u32_e32 vcc, 0, v6
	s_waitcnt lgkmcnt(0)
	s_ashr_i32 s7, s6, 31
	s_add_u32 s3, s12, s0
	s_addc_u32 s12, s13, s1
	s_lshl_b64 s[0:1], s[6:7], 3
	s_add_u32 s0, s3, s0
	s_addc_u32 s1, s12, s1
	s_load_dwordx2 s[20:21], s[0:1], 0x0
	s_load_dwordx2 s[16:17], s[4:5], 0x10
	s_load_dwordx4 s[12:15], s[4:5], 0x38
	v_mov_b32_e32 v7, 0
	s_waitcnt lgkmcnt(0)
	s_lshl_b64 s[6:7], s[20:21], 2
	s_add_u32 s0, s16, s6
	s_addc_u32 s1, s17, s7
	s_load_dwordx2 s[0:1], s[0:1], 0x0
	s_and_saveexec_b64 s[16:17], vcc
	s_cbranch_execz .LBB36_5
; %bb.4:
	s_load_dwordx4 s[24:27], s[4:5], 0x28
	s_waitcnt lgkmcnt(0)
	s_mul_i32 s3, s20, s27
	s_mul_hi_u32 s18, s20, s26
	s_mul_i32 s19, s21, s26
	s_add_i32 s3, s18, s3
	s_add_i32 s19, s3, s19
	s_mul_i32 s18, s20, s26
	s_lshl_b64 s[18:19], s[18:19], 2
	s_add_u32 s18, s24, s18
	s_addc_u32 s19, s25, s19
	s_load_dword s3, s[18:19], 0x0
	s_waitcnt lgkmcnt(0)
	v_mov_b32_e32 v0, s3
	v_mul_f32_e32 v7, s2, v0
.LBB36_5:
	s_or_b64 exec, exec, s[16:17]
	v_subrev_u32_e32 v0, s8, v6
	s_waitcnt lgkmcnt(0)
	s_sub_i32 s33, s1, s8
	v_add_u32_e32 v0, s0, v0
	v_cmp_gt_i32_e32 vcc, s33, v0
	s_and_saveexec_b64 s[22:23], vcc
	s_cbranch_execz .LBB36_45
; %bb.6:
	s_load_dwordx2 s[24:25], s[4:5], 0x58
	s_load_dwordx4 s[16:19], s[4:5], 0x18
	s_cmp_eq_u32 s10, 0
	s_cselect_b64 s[26:27], -1, 0
	s_mov_b32 s0, 0
	s_add_u32 s28, s20, s8
	v_cndmask_b32_e64 v1, 0, 1, s[26:27]
	s_mov_b32 s40, s8
	s_addc_u32 s29, s21, 0
	s_lshl_b32 s8, s11, 2
	s_mov_b64 s[30:31], 0
	s_waitcnt lgkmcnt(0)
	v_mov_b32_e32 v8, s17
	v_mov_b32_e32 v9, s0
	;; [unrolled: 1-line block ×4, first 2 shown]
	v_cmp_ne_u32_e64 s[0:1], 1, v1
	s_branch .LBB36_8
.LBB36_7:                               ;   in Loop: Header=BB36_8 Depth=1
	s_or_b64 exec, exec, s[34:35]
	s_and_b64 s[2:3], exec, s[2:3]
	s_or_b64 s[30:31], s[2:3], s[30:31]
	v_mov_b32_e32 v7, v4
	s_andn2_b64 exec, exec, s[30:31]
	s_cbranch_execz .LBB36_44
.LBB36_8:                               ; =>This Loop Header: Depth=1
                                        ;     Child Loop BB36_34 Depth 2
                                        ;       Child Loop BB36_35 Depth 3
	v_ashrrev_i32_e32 v1, 31, v0
	v_lshlrev_b64 v[2:3], 3, v[0:1]
	v_add_co_u32_e32 v2, vcc, s16, v2
	v_addc_co_u32_e32 v3, vcc, v8, v3, vcc
	global_load_dwordx2 v[2:3], v[2:3], off glc slc
	v_lshlrev_b64 v[4:5], 2, v[0:1]
	v_add_co_u32_e32 v4, vcc, s18, v4
	v_addc_co_u32_e32 v5, vcc, v10, v5, vcc
	global_load_dword v1, v[4:5], off glc slc
	s_waitcnt vmcnt(1)
	v_subrev_co_u32_e32 v2, vcc, s40, v2
	v_subb_co_u32_e32 v3, vcc, v3, v9, vcc
	v_cmp_eq_u64_e32 vcc, s[20:21], v[2:3]
	s_and_b64 s[4:5], s[26:27], vcc
	s_waitcnt vmcnt(0)
	v_cmp_eq_f32_e64 s[2:3], 0, v1
	s_and_b64 s[2:3], s[2:3], s[4:5]
	s_and_saveexec_b64 s[4:5], s[2:3]
	s_cbranch_execz .LBB36_12
; %bb.9:                                ;   in Loop: Header=BB36_8 Depth=1
	v_mbcnt_lo_u32_b32 v1, exec_lo, 0
	v_mbcnt_hi_u32_b32 v1, exec_hi, v1
	v_cmp_eq_u32_e64 s[2:3], 0, v1
	s_and_saveexec_b64 s[34:35], s[2:3]
	s_cbranch_execz .LBB36_11
; %bb.10:                               ;   in Loop: Header=BB36_8 Depth=1
	v_pk_mov_b32 v[4:5], s[28:29], s[28:29] op_sel:[0,1]
	global_atomic_umin_x2 v11, v[4:5], s[24:25]
.LBB36_11:                              ;   in Loop: Header=BB36_8 Depth=1
	s_or_b64 exec, exec, s[34:35]
	v_mov_b32_e32 v1, 1.0
.LBB36_12:                              ;   in Loop: Header=BB36_8 Depth=1
	s_or_b64 exec, exec, s[4:5]
	v_cmp_ne_u64_e64 s[2:3], s[20:21], v[2:3]
	s_cmp_lt_i32 s9, 1
	s_mov_b64 s[34:35], 0
	s_cbranch_scc1 .LBB36_21
; %bb.13:                               ;   in Loop: Header=BB36_8 Depth=1
	s_cmp_eq_u32 s9, 1
	s_cbranch_scc0 .LBB36_22
; %bb.14:                               ;   in Loop: Header=BB36_8 Depth=1
	v_cmp_le_i64_e64 s[4:5], s[20:21], v[2:3]
	s_mov_b64 s[36:37], 0
	s_and_saveexec_b64 s[38:39], s[4:5]
	s_cbranch_execz .LBB36_20
; %bb.15:                               ;   in Loop: Header=BB36_8 Depth=1
	s_mov_b64 s[36:37], -1
	s_and_saveexec_b64 s[4:5], vcc
	s_xor_b64 s[4:5], exec, s[4:5]
	s_cbranch_execz .LBB36_19
; %bb.16:                               ;   in Loop: Header=BB36_8 Depth=1
	s_and_b64 vcc, exec, s[0:1]
	s_cbranch_vccnz .LBB36_18
; %bb.17:                               ;   in Loop: Header=BB36_8 Depth=1
	v_div_scale_f32 v4, s[36:37], v1, v1, 1.0
	v_rcp_f32_e32 v5, v4
	v_div_scale_f32 v12, vcc, 1.0, v1, 1.0
	v_fma_f32 v13, -v4, v5, 1.0
	v_fmac_f32_e32 v5, v13, v5
	v_mul_f32_e32 v13, v12, v5
	v_fma_f32 v14, -v4, v13, v12
	v_fmac_f32_e32 v13, v14, v5
	v_fma_f32 v4, -v4, v13, v12
	v_div_fmas_f32 v4, v4, v5, v13
	v_div_fixup_f32 v4, v4, v1, 1.0
	v_mov_b32_e32 v5, s8
	ds_write_b32 v5, v4
.LBB36_18:                              ;   in Loop: Header=BB36_8 Depth=1
	s_xor_b64 s[36:37], exec, -1
.LBB36_19:                              ;   in Loop: Header=BB36_8 Depth=1
	s_or_b64 exec, exec, s[4:5]
	s_and_b64 s[36:37], s[36:37], exec
.LBB36_20:                              ;   in Loop: Header=BB36_8 Depth=1
	s_or_b64 exec, exec, s[38:39]
	s_mov_b32 s17, 4
	v_mov_b32_e32 v4, v7
	s_branch .LBB36_23
.LBB36_21:                              ;   in Loop: Header=BB36_8 Depth=1
	s_mov_b64 s[36:37], 0
                                        ; implicit-def: $sgpr17
                                        ; implicit-def: $vgpr4
	s_cbranch_execnz .LBB36_24
	s_branch .LBB36_26
.LBB36_22:                              ;   in Loop: Header=BB36_8 Depth=1
	s_mov_b64 s[36:37], -1
                                        ; implicit-def: $sgpr17
                                        ; implicit-def: $vgpr4
.LBB36_23:                              ;   in Loop: Header=BB36_8 Depth=1
	s_branch .LBB36_26
.LBB36_24:                              ;   in Loop: Header=BB36_8 Depth=1
	s_cmp_eq_u32 s9, 0
	s_cbranch_scc1 .LBB36_28
; %bb.25:                               ;   in Loop: Header=BB36_8 Depth=1
	s_mov_b64 s[36:37], -1
                                        ; implicit-def: $sgpr17
                                        ; implicit-def: $vgpr4
.LBB36_26:                              ;   in Loop: Header=BB36_8 Depth=1
	v_mov_b32_e32 v5, s17
	s_and_saveexec_b64 s[2:3], s[36:37]
	s_cbranch_execnz .LBB36_31
.LBB36_27:                              ;   in Loop: Header=BB36_8 Depth=1
	s_or_b64 exec, exec, s[2:3]
	s_and_saveexec_b64 s[2:3], s[34:35]
	s_cbranch_execnz .LBB36_37
	s_branch .LBB36_40
.LBB36_28:                              ;   in Loop: Header=BB36_8 Depth=1
	v_cmp_ge_i64_e32 vcc, s[20:21], v[2:3]
	s_mov_b64 s[36:37], 0
	s_and_saveexec_b64 s[4:5], vcc
; %bb.29:                               ;   in Loop: Header=BB36_8 Depth=1
	s_mov_b64 s[34:35], exec
	s_and_b64 s[36:37], s[2:3], exec
; %bb.30:                               ;   in Loop: Header=BB36_8 Depth=1
	s_or_b64 exec, exec, s[4:5]
	s_mov_b32 s17, 2
	v_mov_b32_e32 v4, v7
	v_mov_b32_e32 v5, s17
	s_and_saveexec_b64 s[2:3], s[36:37]
	s_cbranch_execz .LBB36_27
.LBB36_31:                              ;   in Loop: Header=BB36_8 Depth=1
	v_lshlrev_b64 v[2:3], 2, v[2:3]
	v_mov_b32_e32 v5, s15
	v_add_co_u32_e32 v4, vcc, s14, v2
	v_addc_co_u32_e32 v5, vcc, v5, v3, vcc
	global_load_dword v12, v[4:5], off glc
	s_waitcnt vmcnt(0)
	v_cmp_eq_u32_e32 vcc, 0, v12
	s_and_saveexec_b64 s[4:5], vcc
	s_cbranch_execz .LBB36_36
; %bb.32:                               ;   in Loop: Header=BB36_8 Depth=1
	s_mov_b32 s17, 0
	s_mov_b64 s[36:37], 0
	s_branch .LBB36_34
.LBB36_33:                              ;   in Loop: Header=BB36_34 Depth=2
	global_load_dword v12, v[4:5], off glc
	s_cmpk_lt_u32 s17, 0xf43
	s_cselect_b64 s[38:39], -1, 0
	s_cmp_lg_u64 s[38:39], 0
	s_addc_u32 s17, s17, 0
	s_waitcnt vmcnt(0)
	v_cmp_ne_u32_e32 vcc, 0, v12
	s_or_b64 s[36:37], vcc, s[36:37]
	s_andn2_b64 exec, exec, s[36:37]
	s_cbranch_execz .LBB36_36
.LBB36_34:                              ;   Parent Loop BB36_8 Depth=1
                                        ; =>  This Loop Header: Depth=2
                                        ;       Child Loop BB36_35 Depth 3
	s_cmp_eq_u32 s17, 0
	s_mov_b32 s19, s17
	s_cbranch_scc1 .LBB36_33
.LBB36_35:                              ;   Parent Loop BB36_8 Depth=1
                                        ;     Parent Loop BB36_34 Depth=2
                                        ; =>    This Inner Loop Header: Depth=3
	s_add_i32 s19, s19, -1
	s_cmp_eq_u32 s19, 0
	s_sleep 1
	s_cbranch_scc0 .LBB36_35
	s_branch .LBB36_33
.LBB36_36:                              ;   in Loop: Header=BB36_8 Depth=1
	s_or_b64 exec, exec, s[4:5]
	v_mov_b32_e32 v4, s13
	v_add_co_u32_e32 v2, vcc, s12, v2
	v_addc_co_u32_e32 v3, vcc, v4, v3, vcc
	s_waitcnt lgkmcnt(0)
	buffer_wbinvl1_vol
	global_load_dword v2, v[2:3], off
	v_mov_b32_e32 v5, 0
	s_andn2_b64 s[34:35], s[34:35], exec
	s_waitcnt vmcnt(0)
	v_fma_f32 v4, -v1, v2, v7
	s_or_b64 exec, exec, s[2:3]
	s_and_saveexec_b64 s[2:3], s[34:35]
	s_cbranch_execz .LBB36_40
.LBB36_37:                              ;   in Loop: Header=BB36_8 Depth=1
	s_and_b64 vcc, exec, s[0:1]
	s_cbranch_vccnz .LBB36_39
; %bb.38:                               ;   in Loop: Header=BB36_8 Depth=1
	v_div_scale_f32 v2, s[4:5], v1, v1, 1.0
	v_rcp_f32_e32 v3, v2
	v_div_scale_f32 v4, vcc, 1.0, v1, 1.0
	v_fma_f32 v5, -v2, v3, 1.0
	v_fmac_f32_e32 v3, v5, v3
	v_mul_f32_e32 v5, v4, v3
	v_fma_f32 v12, -v2, v5, v4
	v_fmac_f32_e32 v5, v12, v3
	v_fma_f32 v2, -v2, v5, v4
	v_div_fmas_f32 v2, v2, v3, v5
	v_div_fixup_f32 v1, v2, v1, 1.0
	v_mov_b32_e32 v2, s8
	ds_write_b32 v2, v1
.LBB36_39:                              ;   in Loop: Header=BB36_8 Depth=1
	v_mov_b32_e32 v5, 2
	v_mov_b32_e32 v4, v7
.LBB36_40:                              ;   in Loop: Header=BB36_8 Depth=1
	s_or_b64 exec, exec, s[2:3]
	v_cmp_gt_i32_e32 vcc, 4, v5
	s_mov_b64 s[2:3], -1
	s_mov_b64 s[4:5], -1
	s_and_saveexec_b64 s[34:35], vcc
; %bb.41:                               ;   in Loop: Header=BB36_8 Depth=1
	v_cmp_eq_u32_e32 vcc, 0, v5
	s_orn2_b64 s[4:5], vcc, exec
; %bb.42:                               ;   in Loop: Header=BB36_8 Depth=1
	s_or_b64 exec, exec, s[34:35]
	s_and_saveexec_b64 s[34:35], s[4:5]
	s_cbranch_execz .LBB36_7
; %bb.43:                               ;   in Loop: Header=BB36_8 Depth=1
	v_add_u32_e32 v0, 64, v0
	v_cmp_le_i32_e32 vcc, s33, v0
	s_orn2_b64 s[2:3], vcc, exec
	s_branch .LBB36_7
.LBB36_44:
	s_or_b64 exec, exec, s[30:31]
	v_mov_b32_e32 v7, v4
.LBB36_45:
	s_or_b64 exec, exec, s[22:23]
	s_nop 0
	v_mov_b32_dpp v0, v7 row_shr:1 row_mask:0xf bank_mask:0xf
	v_add_f32_e32 v0, v7, v0
	s_cmp_lg_u32 s10, 0
	s_nop 0
	v_mov_b32_dpp v1, v0 row_shr:2 row_mask:0xf bank_mask:0xf
	v_add_f32_e32 v0, v0, v1
	s_nop 1
	v_mov_b32_dpp v1, v0 row_shr:4 row_mask:0xf bank_mask:0xe
	v_add_f32_e32 v0, v0, v1
	;; [unrolled: 3-line block ×3, first 2 shown]
	s_nop 1
	v_mov_b32_dpp v1, v0 row_bcast:15 row_mask:0xa bank_mask:0xf
	v_add_f32_e32 v0, v0, v1
	s_nop 1
	v_mov_b32_dpp v1, v0 row_bcast:31 row_mask:0xc bank_mask:0xf
	v_add_f32_e32 v0, v0, v1
	s_cbranch_scc0 .LBB36_49
; %bb.46:
	v_cmp_eq_u32_e32 vcc, 63, v6
	s_and_saveexec_b64 s[0:1], vcc
	s_cbranch_execz .LBB36_48
.LBB36_47:
	s_add_u32 s0, s12, s6
	s_addc_u32 s1, s13, s7
	v_mov_b32_e32 v1, 0
	s_add_u32 s2, s14, s6
	s_addc_u32 s3, s15, s7
	global_store_dword v1, v0, s[0:1] glc slc
	v_mov_b32_e32 v0, 1
	s_waitcnt vmcnt(0)
	global_store_dword v1, v0, s[2:3]
.LBB36_48:
	s_endpgm
.LBB36_49:
	s_lshl_b32 s0, s11, 2
	v_mov_b32_e32 v1, s0
	s_waitcnt lgkmcnt(0)
	ds_read_b32 v1, v1
	s_waitcnt lgkmcnt(0)
	v_mul_f32_e32 v0, v0, v1
	v_cmp_eq_u32_e32 vcc, 63, v6
	s_and_saveexec_b64 s[0:1], vcc
	s_cbranch_execnz .LBB36_47
	s_branch .LBB36_48
	.section	.rodata,"a",@progbits
	.p2align	6, 0x0
	.amdhsa_kernel _ZN9rocsparseL12csrsv_kernelILj1024ELj64ELb1EilfEEvT3_NS_24const_host_device_scalarIT4_EEPKT2_PKS1_PKS3_SB_lPS3_PiS9_iPS1_21rocsparse_index_base_20rocsparse_fill_mode_20rocsparse_diag_type_b
		.amdhsa_group_segment_fixed_size 64
		.amdhsa_private_segment_fixed_size 0
		.amdhsa_kernarg_size 112
		.amdhsa_user_sgpr_count 6
		.amdhsa_user_sgpr_private_segment_buffer 1
		.amdhsa_user_sgpr_dispatch_ptr 0
		.amdhsa_user_sgpr_queue_ptr 0
		.amdhsa_user_sgpr_kernarg_segment_ptr 1
		.amdhsa_user_sgpr_dispatch_id 0
		.amdhsa_user_sgpr_flat_scratch_init 0
		.amdhsa_user_sgpr_kernarg_preload_length 0
		.amdhsa_user_sgpr_kernarg_preload_offset 0
		.amdhsa_user_sgpr_private_segment_size 0
		.amdhsa_uses_dynamic_stack 0
		.amdhsa_system_sgpr_private_segment_wavefront_offset 0
		.amdhsa_system_sgpr_workgroup_id_x 1
		.amdhsa_system_sgpr_workgroup_id_y 0
		.amdhsa_system_sgpr_workgroup_id_z 0
		.amdhsa_system_sgpr_workgroup_info 0
		.amdhsa_system_vgpr_workitem_id 0
		.amdhsa_next_free_vgpr 15
		.amdhsa_next_free_sgpr 41
		.amdhsa_accum_offset 16
		.amdhsa_reserve_vcc 1
		.amdhsa_reserve_flat_scratch 0
		.amdhsa_float_round_mode_32 0
		.amdhsa_float_round_mode_16_64 0
		.amdhsa_float_denorm_mode_32 3
		.amdhsa_float_denorm_mode_16_64 3
		.amdhsa_dx10_clamp 1
		.amdhsa_ieee_mode 1
		.amdhsa_fp16_overflow 0
		.amdhsa_tg_split 0
		.amdhsa_exception_fp_ieee_invalid_op 0
		.amdhsa_exception_fp_denorm_src 0
		.amdhsa_exception_fp_ieee_div_zero 0
		.amdhsa_exception_fp_ieee_overflow 0
		.amdhsa_exception_fp_ieee_underflow 0
		.amdhsa_exception_fp_ieee_inexact 0
		.amdhsa_exception_int_div_zero 0
	.end_amdhsa_kernel
	.section	.text._ZN9rocsparseL12csrsv_kernelILj1024ELj64ELb1EilfEEvT3_NS_24const_host_device_scalarIT4_EEPKT2_PKS1_PKS3_SB_lPS3_PiS9_iPS1_21rocsparse_index_base_20rocsparse_fill_mode_20rocsparse_diag_type_b,"axG",@progbits,_ZN9rocsparseL12csrsv_kernelILj1024ELj64ELb1EilfEEvT3_NS_24const_host_device_scalarIT4_EEPKT2_PKS1_PKS3_SB_lPS3_PiS9_iPS1_21rocsparse_index_base_20rocsparse_fill_mode_20rocsparse_diag_type_b,comdat
.Lfunc_end36:
	.size	_ZN9rocsparseL12csrsv_kernelILj1024ELj64ELb1EilfEEvT3_NS_24const_host_device_scalarIT4_EEPKT2_PKS1_PKS3_SB_lPS3_PiS9_iPS1_21rocsparse_index_base_20rocsparse_fill_mode_20rocsparse_diag_type_b, .Lfunc_end36-_ZN9rocsparseL12csrsv_kernelILj1024ELj64ELb1EilfEEvT3_NS_24const_host_device_scalarIT4_EEPKT2_PKS1_PKS3_SB_lPS3_PiS9_iPS1_21rocsparse_index_base_20rocsparse_fill_mode_20rocsparse_diag_type_b
                                        ; -- End function
	.section	.AMDGPU.csdata,"",@progbits
; Kernel info:
; codeLenInByte = 1428
; NumSgprs: 45
; NumVgprs: 15
; NumAgprs: 0
; TotalNumVgprs: 15
; ScratchSize: 0
; MemoryBound: 0
; FloatMode: 240
; IeeeMode: 1
; LDSByteSize: 64 bytes/workgroup (compile time only)
; SGPRBlocks: 5
; VGPRBlocks: 1
; NumSGPRsForWavesPerEU: 45
; NumVGPRsForWavesPerEU: 15
; AccumOffset: 16
; Occupancy: 8
; WaveLimiterHint : 1
; COMPUTE_PGM_RSRC2:SCRATCH_EN: 0
; COMPUTE_PGM_RSRC2:USER_SGPR: 6
; COMPUTE_PGM_RSRC2:TRAP_HANDLER: 0
; COMPUTE_PGM_RSRC2:TGID_X_EN: 1
; COMPUTE_PGM_RSRC2:TGID_Y_EN: 0
; COMPUTE_PGM_RSRC2:TGID_Z_EN: 0
; COMPUTE_PGM_RSRC2:TIDIG_COMP_CNT: 0
; COMPUTE_PGM_RSRC3_GFX90A:ACCUM_OFFSET: 3
; COMPUTE_PGM_RSRC3_GFX90A:TG_SPLIT: 0
	.section	.text._ZN9rocsparseL12csrsv_kernelILj1024ELj32ELb0EilfEEvT3_NS_24const_host_device_scalarIT4_EEPKT2_PKS1_PKS3_SB_lPS3_PiS9_iPS1_21rocsparse_index_base_20rocsparse_fill_mode_20rocsparse_diag_type_b,"axG",@progbits,_ZN9rocsparseL12csrsv_kernelILj1024ELj32ELb0EilfEEvT3_NS_24const_host_device_scalarIT4_EEPKT2_PKS1_PKS3_SB_lPS3_PiS9_iPS1_21rocsparse_index_base_20rocsparse_fill_mode_20rocsparse_diag_type_b,comdat
	.globl	_ZN9rocsparseL12csrsv_kernelILj1024ELj32ELb0EilfEEvT3_NS_24const_host_device_scalarIT4_EEPKT2_PKS1_PKS3_SB_lPS3_PiS9_iPS1_21rocsparse_index_base_20rocsparse_fill_mode_20rocsparse_diag_type_b ; -- Begin function _ZN9rocsparseL12csrsv_kernelILj1024ELj32ELb0EilfEEvT3_NS_24const_host_device_scalarIT4_EEPKT2_PKS1_PKS3_SB_lPS3_PiS9_iPS1_21rocsparse_index_base_20rocsparse_fill_mode_20rocsparse_diag_type_b
	.p2align	8
	.type	_ZN9rocsparseL12csrsv_kernelILj1024ELj32ELb0EilfEEvT3_NS_24const_host_device_scalarIT4_EEPKT2_PKS1_PKS3_SB_lPS3_PiS9_iPS1_21rocsparse_index_base_20rocsparse_fill_mode_20rocsparse_diag_type_b,@function
_ZN9rocsparseL12csrsv_kernelILj1024ELj32ELb0EilfEEvT3_NS_24const_host_device_scalarIT4_EEPKT2_PKS1_PKS3_SB_lPS3_PiS9_iPS1_21rocsparse_index_base_20rocsparse_fill_mode_20rocsparse_diag_type_b: ; @_ZN9rocsparseL12csrsv_kernelILj1024ELj32ELb0EilfEEvT3_NS_24const_host_device_scalarIT4_EEPKT2_PKS1_PKS3_SB_lPS3_PiS9_iPS1_21rocsparse_index_base_20rocsparse_fill_mode_20rocsparse_diag_type_b
; %bb.0:
	s_load_dwordx4 s[8:11], s[4:5], 0x60
	s_load_dwordx4 s[0:3], s[4:5], 0x0
	s_waitcnt lgkmcnt(0)
	s_bitcmp1_b32 s11, 0
	s_cselect_b64 s[12:13], -1, 0
	s_and_b64 vcc, exec, s[12:13]
	s_cbranch_vccnz .LBB37_2
; %bb.1:
	s_load_dword s2, s[2:3], 0x0
.LBB37_2:
	v_lshrrev_b32_e32 v1, 5, v0
	v_mov_b32_e32 v2, s0
	v_readfirstlane_b32 s11, v1
	s_lshl_b32 s0, s6, 5
	v_mov_b32_e32 v3, s1
	s_add_i32 s0, s11, s0
	s_mov_b32 s1, 0
	v_cmp_ge_i64_e32 vcc, s[0:1], v[2:3]
	s_cbranch_vccnz .LBB37_46
; %bb.3:
	s_load_dword s6, s[4:5], 0x50
	s_load_dwordx2 s[12:13], s[4:5], 0x48
	s_lshl_b64 s[0:1], s[0:1], 3
	v_and_b32_e32 v6, 31, v0
	v_cmp_eq_u32_e32 vcc, 0, v6
	s_waitcnt lgkmcnt(0)
	s_ashr_i32 s7, s6, 31
	s_add_u32 s3, s12, s0
	s_addc_u32 s12, s13, s1
	s_lshl_b64 s[0:1], s[6:7], 3
	s_add_u32 s0, s3, s0
	s_addc_u32 s1, s12, s1
	s_load_dwordx2 s[20:21], s[0:1], 0x0
	s_load_dwordx2 s[16:17], s[4:5], 0x10
	s_load_dwordx4 s[12:15], s[4:5], 0x38
	v_mov_b32_e32 v7, 0
	s_waitcnt lgkmcnt(0)
	s_lshl_b64 s[6:7], s[20:21], 2
	s_add_u32 s0, s16, s6
	s_addc_u32 s1, s17, s7
	s_load_dwordx2 s[0:1], s[0:1], 0x0
	s_and_saveexec_b64 s[16:17], vcc
	s_cbranch_execz .LBB37_5
; %bb.4:
	s_load_dwordx4 s[24:27], s[4:5], 0x28
	s_waitcnt lgkmcnt(0)
	s_mul_i32 s3, s20, s27
	s_mul_hi_u32 s18, s20, s26
	s_mul_i32 s19, s21, s26
	s_add_i32 s3, s18, s3
	s_add_i32 s19, s3, s19
	s_mul_i32 s18, s20, s26
	s_lshl_b64 s[18:19], s[18:19], 2
	s_add_u32 s18, s24, s18
	s_addc_u32 s19, s25, s19
	s_load_dword s3, s[18:19], 0x0
	s_waitcnt lgkmcnt(0)
	v_mov_b32_e32 v0, s3
	v_mul_f32_e32 v7, s2, v0
.LBB37_5:
	s_or_b64 exec, exec, s[16:17]
	v_subrev_u32_e32 v0, s8, v6
	s_waitcnt lgkmcnt(0)
	s_sub_i32 s33, s1, s8
	v_add_u32_e32 v0, s0, v0
	v_cmp_gt_i32_e32 vcc, s33, v0
	s_and_saveexec_b64 s[22:23], vcc
	s_cbranch_execz .LBB37_43
; %bb.6:
	s_load_dwordx2 s[24:25], s[4:5], 0x58
	s_load_dwordx4 s[16:19], s[4:5], 0x18
	s_cmp_eq_u32 s10, 0
	s_cselect_b64 s[26:27], -1, 0
	s_mov_b32 s0, 0
	s_add_u32 s28, s20, s8
	v_cndmask_b32_e64 v1, 0, 1, s[26:27]
	s_mov_b32 s40, s8
	s_addc_u32 s29, s21, 0
	s_lshl_b32 s8, s11, 2
	s_mov_b64 s[30:31], 0
	s_waitcnt lgkmcnt(0)
	v_mov_b32_e32 v8, s17
	v_mov_b32_e32 v9, s0
	;; [unrolled: 1-line block ×4, first 2 shown]
	v_cmp_ne_u32_e64 s[0:1], 1, v1
	s_branch .LBB37_8
.LBB37_7:                               ;   in Loop: Header=BB37_8 Depth=1
	s_or_b64 exec, exec, s[34:35]
	s_and_b64 s[2:3], exec, s[2:3]
	s_or_b64 s[30:31], s[2:3], s[30:31]
	v_mov_b32_e32 v7, v4
	s_andn2_b64 exec, exec, s[30:31]
	s_cbranch_execz .LBB37_42
.LBB37_8:                               ; =>This Loop Header: Depth=1
                                        ;     Child Loop BB37_33 Depth 2
	v_ashrrev_i32_e32 v1, 31, v0
	v_lshlrev_b64 v[2:3], 3, v[0:1]
	v_add_co_u32_e32 v2, vcc, s16, v2
	v_addc_co_u32_e32 v3, vcc, v8, v3, vcc
	global_load_dwordx2 v[2:3], v[2:3], off glc slc
	v_lshlrev_b64 v[4:5], 2, v[0:1]
	v_add_co_u32_e32 v4, vcc, s18, v4
	v_addc_co_u32_e32 v5, vcc, v10, v5, vcc
	global_load_dword v1, v[4:5], off glc slc
	s_waitcnt vmcnt(1)
	v_subrev_co_u32_e32 v2, vcc, s40, v2
	v_subb_co_u32_e32 v3, vcc, v3, v9, vcc
	v_cmp_eq_u64_e32 vcc, s[20:21], v[2:3]
	s_and_b64 s[4:5], s[26:27], vcc
	s_waitcnt vmcnt(0)
	v_cmp_eq_f32_e64 s[2:3], 0, v1
	s_and_b64 s[2:3], s[2:3], s[4:5]
	s_and_saveexec_b64 s[4:5], s[2:3]
	s_cbranch_execz .LBB37_12
; %bb.9:                                ;   in Loop: Header=BB37_8 Depth=1
	v_mbcnt_lo_u32_b32 v1, exec_lo, 0
	v_mbcnt_hi_u32_b32 v1, exec_hi, v1
	v_cmp_eq_u32_e64 s[2:3], 0, v1
	s_and_saveexec_b64 s[34:35], s[2:3]
	s_cbranch_execz .LBB37_11
; %bb.10:                               ;   in Loop: Header=BB37_8 Depth=1
	v_pk_mov_b32 v[4:5], s[28:29], s[28:29] op_sel:[0,1]
	global_atomic_umin_x2 v11, v[4:5], s[24:25]
.LBB37_11:                              ;   in Loop: Header=BB37_8 Depth=1
	s_or_b64 exec, exec, s[34:35]
	v_mov_b32_e32 v1, 1.0
.LBB37_12:                              ;   in Loop: Header=BB37_8 Depth=1
	s_or_b64 exec, exec, s[4:5]
	v_cmp_ne_u64_e64 s[2:3], s[20:21], v[2:3]
	s_cmp_lt_i32 s9, 1
	s_mov_b64 s[34:35], 0
	s_cbranch_scc1 .LBB37_21
; %bb.13:                               ;   in Loop: Header=BB37_8 Depth=1
	s_cmp_eq_u32 s9, 1
	s_cbranch_scc0 .LBB37_22
; %bb.14:                               ;   in Loop: Header=BB37_8 Depth=1
	v_cmp_le_i64_e64 s[4:5], s[20:21], v[2:3]
	s_mov_b64 s[36:37], 0
	s_and_saveexec_b64 s[38:39], s[4:5]
	s_cbranch_execz .LBB37_20
; %bb.15:                               ;   in Loop: Header=BB37_8 Depth=1
	s_mov_b64 s[36:37], -1
	s_and_saveexec_b64 s[4:5], vcc
	s_xor_b64 s[4:5], exec, s[4:5]
	s_cbranch_execz .LBB37_19
; %bb.16:                               ;   in Loop: Header=BB37_8 Depth=1
	s_and_b64 vcc, exec, s[0:1]
	s_cbranch_vccnz .LBB37_18
; %bb.17:                               ;   in Loop: Header=BB37_8 Depth=1
	v_div_scale_f32 v4, s[36:37], v1, v1, 1.0
	v_rcp_f32_e32 v5, v4
	v_div_scale_f32 v12, vcc, 1.0, v1, 1.0
	v_fma_f32 v13, -v4, v5, 1.0
	v_fmac_f32_e32 v5, v13, v5
	v_mul_f32_e32 v13, v12, v5
	v_fma_f32 v14, -v4, v13, v12
	v_fmac_f32_e32 v13, v14, v5
	v_fma_f32 v4, -v4, v13, v12
	v_div_fmas_f32 v4, v4, v5, v13
	v_div_fixup_f32 v4, v4, v1, 1.0
	v_mov_b32_e32 v5, s8
	ds_write_b32 v5, v4
.LBB37_18:                              ;   in Loop: Header=BB37_8 Depth=1
	s_xor_b64 s[36:37], exec, -1
.LBB37_19:                              ;   in Loop: Header=BB37_8 Depth=1
	s_or_b64 exec, exec, s[4:5]
	s_and_b64 s[36:37], s[36:37], exec
.LBB37_20:                              ;   in Loop: Header=BB37_8 Depth=1
	s_or_b64 exec, exec, s[38:39]
	s_mov_b32 s17, 4
	v_mov_b32_e32 v4, v7
	s_branch .LBB37_23
.LBB37_21:                              ;   in Loop: Header=BB37_8 Depth=1
	s_mov_b64 s[36:37], 0
                                        ; implicit-def: $sgpr17
                                        ; implicit-def: $vgpr4
	s_cbranch_execnz .LBB37_24
	s_branch .LBB37_26
.LBB37_22:                              ;   in Loop: Header=BB37_8 Depth=1
	s_mov_b64 s[36:37], -1
                                        ; implicit-def: $sgpr17
                                        ; implicit-def: $vgpr4
.LBB37_23:                              ;   in Loop: Header=BB37_8 Depth=1
	s_branch .LBB37_26
.LBB37_24:                              ;   in Loop: Header=BB37_8 Depth=1
	s_cmp_eq_u32 s9, 0
	s_cbranch_scc1 .LBB37_28
; %bb.25:                               ;   in Loop: Header=BB37_8 Depth=1
	s_mov_b64 s[36:37], -1
                                        ; implicit-def: $sgpr17
                                        ; implicit-def: $vgpr4
.LBB37_26:                              ;   in Loop: Header=BB37_8 Depth=1
	v_mov_b32_e32 v5, s17
	s_and_saveexec_b64 s[2:3], s[36:37]
	s_cbranch_execnz .LBB37_31
.LBB37_27:                              ;   in Loop: Header=BB37_8 Depth=1
	s_or_b64 exec, exec, s[2:3]
	s_and_saveexec_b64 s[2:3], s[34:35]
	s_cbranch_execnz .LBB37_35
	s_branch .LBB37_38
.LBB37_28:                              ;   in Loop: Header=BB37_8 Depth=1
	v_cmp_ge_i64_e32 vcc, s[20:21], v[2:3]
	s_mov_b64 s[36:37], 0
	s_and_saveexec_b64 s[4:5], vcc
; %bb.29:                               ;   in Loop: Header=BB37_8 Depth=1
	s_mov_b64 s[34:35], exec
	s_and_b64 s[36:37], s[2:3], exec
; %bb.30:                               ;   in Loop: Header=BB37_8 Depth=1
	s_or_b64 exec, exec, s[4:5]
	s_mov_b32 s17, 2
	v_mov_b32_e32 v4, v7
	v_mov_b32_e32 v5, s17
	s_and_saveexec_b64 s[2:3], s[36:37]
	s_cbranch_execz .LBB37_27
.LBB37_31:                              ;   in Loop: Header=BB37_8 Depth=1
	v_lshlrev_b64 v[2:3], 2, v[2:3]
	v_mov_b32_e32 v5, s15
	v_add_co_u32_e32 v4, vcc, s14, v2
	v_addc_co_u32_e32 v5, vcc, v5, v3, vcc
	global_load_dword v12, v[4:5], off glc
	s_waitcnt vmcnt(0)
	v_cmp_eq_u32_e32 vcc, 0, v12
	s_and_saveexec_b64 s[4:5], vcc
	s_cbranch_execz .LBB37_34
; %bb.32:                               ;   in Loop: Header=BB37_8 Depth=1
	s_mov_b64 s[36:37], 0
.LBB37_33:                              ;   Parent Loop BB37_8 Depth=1
                                        ; =>  This Inner Loop Header: Depth=2
	global_load_dword v12, v[4:5], off glc
	s_waitcnt vmcnt(0)
	v_cmp_ne_u32_e32 vcc, 0, v12
	s_or_b64 s[36:37], vcc, s[36:37]
	s_andn2_b64 exec, exec, s[36:37]
	s_cbranch_execnz .LBB37_33
.LBB37_34:                              ;   in Loop: Header=BB37_8 Depth=1
	s_or_b64 exec, exec, s[4:5]
	v_mov_b32_e32 v4, s13
	v_add_co_u32_e32 v2, vcc, s12, v2
	v_addc_co_u32_e32 v3, vcc, v4, v3, vcc
	s_waitcnt lgkmcnt(0)
	buffer_wbinvl1_vol
	global_load_dword v2, v[2:3], off
	v_mov_b32_e32 v5, 0
	s_andn2_b64 s[34:35], s[34:35], exec
	s_waitcnt vmcnt(0)
	v_fma_f32 v4, -v1, v2, v7
	s_or_b64 exec, exec, s[2:3]
	s_and_saveexec_b64 s[2:3], s[34:35]
	s_cbranch_execz .LBB37_38
.LBB37_35:                              ;   in Loop: Header=BB37_8 Depth=1
	s_and_b64 vcc, exec, s[0:1]
	s_cbranch_vccnz .LBB37_37
; %bb.36:                               ;   in Loop: Header=BB37_8 Depth=1
	v_div_scale_f32 v2, s[4:5], v1, v1, 1.0
	v_rcp_f32_e32 v3, v2
	v_div_scale_f32 v4, vcc, 1.0, v1, 1.0
	v_fma_f32 v5, -v2, v3, 1.0
	v_fmac_f32_e32 v3, v5, v3
	v_mul_f32_e32 v5, v4, v3
	v_fma_f32 v12, -v2, v5, v4
	v_fmac_f32_e32 v5, v12, v3
	v_fma_f32 v2, -v2, v5, v4
	v_div_fmas_f32 v2, v2, v3, v5
	v_div_fixup_f32 v1, v2, v1, 1.0
	v_mov_b32_e32 v2, s8
	ds_write_b32 v2, v1
.LBB37_37:                              ;   in Loop: Header=BB37_8 Depth=1
	v_mov_b32_e32 v5, 2
	v_mov_b32_e32 v4, v7
.LBB37_38:                              ;   in Loop: Header=BB37_8 Depth=1
	s_or_b64 exec, exec, s[2:3]
	v_cmp_gt_i32_e32 vcc, 4, v5
	s_mov_b64 s[2:3], -1
	s_mov_b64 s[4:5], -1
	s_and_saveexec_b64 s[34:35], vcc
; %bb.39:                               ;   in Loop: Header=BB37_8 Depth=1
	v_cmp_eq_u32_e32 vcc, 0, v5
	s_orn2_b64 s[4:5], vcc, exec
; %bb.40:                               ;   in Loop: Header=BB37_8 Depth=1
	s_or_b64 exec, exec, s[34:35]
	s_and_saveexec_b64 s[34:35], s[4:5]
	s_cbranch_execz .LBB37_7
; %bb.41:                               ;   in Loop: Header=BB37_8 Depth=1
	v_add_u32_e32 v0, 32, v0
	v_cmp_le_i32_e32 vcc, s33, v0
	s_orn2_b64 s[2:3], vcc, exec
	s_branch .LBB37_7
.LBB37_42:
	s_or_b64 exec, exec, s[30:31]
	v_mov_b32_e32 v7, v4
.LBB37_43:
	s_or_b64 exec, exec, s[22:23]
	s_nop 0
	v_mov_b32_dpp v0, v7 row_shr:1 row_mask:0xf bank_mask:0xf
	v_add_f32_e32 v0, v7, v0
	s_cmp_lg_u32 s10, 0
	s_nop 0
	v_mov_b32_dpp v1, v0 row_shr:2 row_mask:0xf bank_mask:0xf
	v_add_f32_e32 v0, v0, v1
	s_nop 1
	v_mov_b32_dpp v1, v0 row_shr:4 row_mask:0xf bank_mask:0xe
	v_add_f32_e32 v0, v0, v1
	;; [unrolled: 3-line block ×3, first 2 shown]
	s_nop 1
	v_mov_b32_dpp v1, v0 row_bcast:15 row_mask:0xa bank_mask:0xf
	v_add_f32_e32 v0, v0, v1
	s_cbranch_scc0 .LBB37_47
; %bb.44:
	v_cmp_eq_u32_e32 vcc, 31, v6
	s_and_saveexec_b64 s[0:1], vcc
	s_cbranch_execz .LBB37_46
.LBB37_45:
	s_add_u32 s0, s12, s6
	s_addc_u32 s1, s13, s7
	v_mov_b32_e32 v1, 0
	s_add_u32 s2, s14, s6
	s_addc_u32 s3, s15, s7
	global_store_dword v1, v0, s[0:1] glc slc
	v_mov_b32_e32 v0, 1
	s_waitcnt vmcnt(0)
	global_store_dword v1, v0, s[2:3]
.LBB37_46:
	s_endpgm
.LBB37_47:
	s_lshl_b32 s0, s11, 2
	v_mov_b32_e32 v1, s0
	s_waitcnt lgkmcnt(0)
	ds_read_b32 v1, v1
	s_waitcnt lgkmcnt(0)
	v_mul_f32_e32 v0, v0, v1
	v_cmp_eq_u32_e32 vcc, 31, v6
	s_and_saveexec_b64 s[0:1], vcc
	s_cbranch_execnz .LBB37_45
	s_branch .LBB37_46
	.section	.rodata,"a",@progbits
	.p2align	6, 0x0
	.amdhsa_kernel _ZN9rocsparseL12csrsv_kernelILj1024ELj32ELb0EilfEEvT3_NS_24const_host_device_scalarIT4_EEPKT2_PKS1_PKS3_SB_lPS3_PiS9_iPS1_21rocsparse_index_base_20rocsparse_fill_mode_20rocsparse_diag_type_b
		.amdhsa_group_segment_fixed_size 128
		.amdhsa_private_segment_fixed_size 0
		.amdhsa_kernarg_size 112
		.amdhsa_user_sgpr_count 6
		.amdhsa_user_sgpr_private_segment_buffer 1
		.amdhsa_user_sgpr_dispatch_ptr 0
		.amdhsa_user_sgpr_queue_ptr 0
		.amdhsa_user_sgpr_kernarg_segment_ptr 1
		.amdhsa_user_sgpr_dispatch_id 0
		.amdhsa_user_sgpr_flat_scratch_init 0
		.amdhsa_user_sgpr_kernarg_preload_length 0
		.amdhsa_user_sgpr_kernarg_preload_offset 0
		.amdhsa_user_sgpr_private_segment_size 0
		.amdhsa_uses_dynamic_stack 0
		.amdhsa_system_sgpr_private_segment_wavefront_offset 0
		.amdhsa_system_sgpr_workgroup_id_x 1
		.amdhsa_system_sgpr_workgroup_id_y 0
		.amdhsa_system_sgpr_workgroup_id_z 0
		.amdhsa_system_sgpr_workgroup_info 0
		.amdhsa_system_vgpr_workitem_id 0
		.amdhsa_next_free_vgpr 15
		.amdhsa_next_free_sgpr 41
		.amdhsa_accum_offset 16
		.amdhsa_reserve_vcc 1
		.amdhsa_reserve_flat_scratch 0
		.amdhsa_float_round_mode_32 0
		.amdhsa_float_round_mode_16_64 0
		.amdhsa_float_denorm_mode_32 3
		.amdhsa_float_denorm_mode_16_64 3
		.amdhsa_dx10_clamp 1
		.amdhsa_ieee_mode 1
		.amdhsa_fp16_overflow 0
		.amdhsa_tg_split 0
		.amdhsa_exception_fp_ieee_invalid_op 0
		.amdhsa_exception_fp_denorm_src 0
		.amdhsa_exception_fp_ieee_div_zero 0
		.amdhsa_exception_fp_ieee_overflow 0
		.amdhsa_exception_fp_ieee_underflow 0
		.amdhsa_exception_fp_ieee_inexact 0
		.amdhsa_exception_int_div_zero 0
	.end_amdhsa_kernel
	.section	.text._ZN9rocsparseL12csrsv_kernelILj1024ELj32ELb0EilfEEvT3_NS_24const_host_device_scalarIT4_EEPKT2_PKS1_PKS3_SB_lPS3_PiS9_iPS1_21rocsparse_index_base_20rocsparse_fill_mode_20rocsparse_diag_type_b,"axG",@progbits,_ZN9rocsparseL12csrsv_kernelILj1024ELj32ELb0EilfEEvT3_NS_24const_host_device_scalarIT4_EEPKT2_PKS1_PKS3_SB_lPS3_PiS9_iPS1_21rocsparse_index_base_20rocsparse_fill_mode_20rocsparse_diag_type_b,comdat
.Lfunc_end37:
	.size	_ZN9rocsparseL12csrsv_kernelILj1024ELj32ELb0EilfEEvT3_NS_24const_host_device_scalarIT4_EEPKT2_PKS1_PKS3_SB_lPS3_PiS9_iPS1_21rocsparse_index_base_20rocsparse_fill_mode_20rocsparse_diag_type_b, .Lfunc_end37-_ZN9rocsparseL12csrsv_kernelILj1024ELj32ELb0EilfEEvT3_NS_24const_host_device_scalarIT4_EEPKT2_PKS1_PKS3_SB_lPS3_PiS9_iPS1_21rocsparse_index_base_20rocsparse_fill_mode_20rocsparse_diag_type_b
                                        ; -- End function
	.section	.AMDGPU.csdata,"",@progbits
; Kernel info:
; codeLenInByte = 1356
; NumSgprs: 45
; NumVgprs: 15
; NumAgprs: 0
; TotalNumVgprs: 15
; ScratchSize: 0
; MemoryBound: 0
; FloatMode: 240
; IeeeMode: 1
; LDSByteSize: 128 bytes/workgroup (compile time only)
; SGPRBlocks: 5
; VGPRBlocks: 1
; NumSGPRsForWavesPerEU: 45
; NumVGPRsForWavesPerEU: 15
; AccumOffset: 16
; Occupancy: 8
; WaveLimiterHint : 1
; COMPUTE_PGM_RSRC2:SCRATCH_EN: 0
; COMPUTE_PGM_RSRC2:USER_SGPR: 6
; COMPUTE_PGM_RSRC2:TRAP_HANDLER: 0
; COMPUTE_PGM_RSRC2:TGID_X_EN: 1
; COMPUTE_PGM_RSRC2:TGID_Y_EN: 0
; COMPUTE_PGM_RSRC2:TGID_Z_EN: 0
; COMPUTE_PGM_RSRC2:TIDIG_COMP_CNT: 0
; COMPUTE_PGM_RSRC3_GFX90A:ACCUM_OFFSET: 3
; COMPUTE_PGM_RSRC3_GFX90A:TG_SPLIT: 0
	.section	.text._ZN9rocsparseL12csrsv_kernelILj1024ELj64ELb0EilfEEvT3_NS_24const_host_device_scalarIT4_EEPKT2_PKS1_PKS3_SB_lPS3_PiS9_iPS1_21rocsparse_index_base_20rocsparse_fill_mode_20rocsparse_diag_type_b,"axG",@progbits,_ZN9rocsparseL12csrsv_kernelILj1024ELj64ELb0EilfEEvT3_NS_24const_host_device_scalarIT4_EEPKT2_PKS1_PKS3_SB_lPS3_PiS9_iPS1_21rocsparse_index_base_20rocsparse_fill_mode_20rocsparse_diag_type_b,comdat
	.globl	_ZN9rocsparseL12csrsv_kernelILj1024ELj64ELb0EilfEEvT3_NS_24const_host_device_scalarIT4_EEPKT2_PKS1_PKS3_SB_lPS3_PiS9_iPS1_21rocsparse_index_base_20rocsparse_fill_mode_20rocsparse_diag_type_b ; -- Begin function _ZN9rocsparseL12csrsv_kernelILj1024ELj64ELb0EilfEEvT3_NS_24const_host_device_scalarIT4_EEPKT2_PKS1_PKS3_SB_lPS3_PiS9_iPS1_21rocsparse_index_base_20rocsparse_fill_mode_20rocsparse_diag_type_b
	.p2align	8
	.type	_ZN9rocsparseL12csrsv_kernelILj1024ELj64ELb0EilfEEvT3_NS_24const_host_device_scalarIT4_EEPKT2_PKS1_PKS3_SB_lPS3_PiS9_iPS1_21rocsparse_index_base_20rocsparse_fill_mode_20rocsparse_diag_type_b,@function
_ZN9rocsparseL12csrsv_kernelILj1024ELj64ELb0EilfEEvT3_NS_24const_host_device_scalarIT4_EEPKT2_PKS1_PKS3_SB_lPS3_PiS9_iPS1_21rocsparse_index_base_20rocsparse_fill_mode_20rocsparse_diag_type_b: ; @_ZN9rocsparseL12csrsv_kernelILj1024ELj64ELb0EilfEEvT3_NS_24const_host_device_scalarIT4_EEPKT2_PKS1_PKS3_SB_lPS3_PiS9_iPS1_21rocsparse_index_base_20rocsparse_fill_mode_20rocsparse_diag_type_b
; %bb.0:
	s_load_dwordx4 s[8:11], s[4:5], 0x60
	s_load_dwordx4 s[0:3], s[4:5], 0x0
	s_waitcnt lgkmcnt(0)
	s_bitcmp1_b32 s11, 0
	s_cselect_b64 s[12:13], -1, 0
	s_and_b64 vcc, exec, s[12:13]
	s_cbranch_vccnz .LBB38_2
; %bb.1:
	s_load_dword s2, s[2:3], 0x0
.LBB38_2:
	v_lshrrev_b32_e32 v1, 6, v0
	v_mov_b32_e32 v2, s0
	v_readfirstlane_b32 s11, v1
	s_lshl_b32 s0, s6, 4
	v_mov_b32_e32 v3, s1
	s_add_i32 s0, s11, s0
	s_mov_b32 s1, 0
	v_cmp_ge_i64_e32 vcc, s[0:1], v[2:3]
	s_cbranch_vccnz .LBB38_46
; %bb.3:
	s_load_dword s6, s[4:5], 0x50
	s_load_dwordx2 s[12:13], s[4:5], 0x48
	s_lshl_b64 s[0:1], s[0:1], 3
	v_and_b32_e32 v6, 63, v0
	v_cmp_eq_u32_e32 vcc, 0, v6
	s_waitcnt lgkmcnt(0)
	s_ashr_i32 s7, s6, 31
	s_add_u32 s3, s12, s0
	s_addc_u32 s12, s13, s1
	s_lshl_b64 s[0:1], s[6:7], 3
	s_add_u32 s0, s3, s0
	s_addc_u32 s1, s12, s1
	s_load_dwordx2 s[20:21], s[0:1], 0x0
	s_load_dwordx2 s[16:17], s[4:5], 0x10
	s_load_dwordx4 s[12:15], s[4:5], 0x38
	v_mov_b32_e32 v7, 0
	s_waitcnt lgkmcnt(0)
	s_lshl_b64 s[6:7], s[20:21], 2
	s_add_u32 s0, s16, s6
	s_addc_u32 s1, s17, s7
	s_load_dwordx2 s[0:1], s[0:1], 0x0
	s_and_saveexec_b64 s[16:17], vcc
	s_cbranch_execz .LBB38_5
; %bb.4:
	s_load_dwordx4 s[24:27], s[4:5], 0x28
	s_waitcnt lgkmcnt(0)
	s_mul_i32 s3, s20, s27
	s_mul_hi_u32 s18, s20, s26
	s_mul_i32 s19, s21, s26
	s_add_i32 s3, s18, s3
	s_add_i32 s19, s3, s19
	s_mul_i32 s18, s20, s26
	s_lshl_b64 s[18:19], s[18:19], 2
	s_add_u32 s18, s24, s18
	s_addc_u32 s19, s25, s19
	s_load_dword s3, s[18:19], 0x0
	s_waitcnt lgkmcnt(0)
	v_mov_b32_e32 v0, s3
	v_mul_f32_e32 v7, s2, v0
.LBB38_5:
	s_or_b64 exec, exec, s[16:17]
	v_subrev_u32_e32 v0, s8, v6
	s_waitcnt lgkmcnt(0)
	s_sub_i32 s33, s1, s8
	v_add_u32_e32 v0, s0, v0
	v_cmp_gt_i32_e32 vcc, s33, v0
	s_and_saveexec_b64 s[22:23], vcc
	s_cbranch_execz .LBB38_43
; %bb.6:
	s_load_dwordx2 s[24:25], s[4:5], 0x58
	s_load_dwordx4 s[16:19], s[4:5], 0x18
	s_cmp_eq_u32 s10, 0
	s_cselect_b64 s[26:27], -1, 0
	s_mov_b32 s0, 0
	s_add_u32 s28, s20, s8
	v_cndmask_b32_e64 v1, 0, 1, s[26:27]
	s_mov_b32 s40, s8
	s_addc_u32 s29, s21, 0
	s_lshl_b32 s8, s11, 2
	s_mov_b64 s[30:31], 0
	s_waitcnt lgkmcnt(0)
	v_mov_b32_e32 v8, s17
	v_mov_b32_e32 v9, s0
	;; [unrolled: 1-line block ×4, first 2 shown]
	v_cmp_ne_u32_e64 s[0:1], 1, v1
	s_branch .LBB38_8
.LBB38_7:                               ;   in Loop: Header=BB38_8 Depth=1
	s_or_b64 exec, exec, s[34:35]
	s_and_b64 s[2:3], exec, s[2:3]
	s_or_b64 s[30:31], s[2:3], s[30:31]
	v_mov_b32_e32 v7, v4
	s_andn2_b64 exec, exec, s[30:31]
	s_cbranch_execz .LBB38_42
.LBB38_8:                               ; =>This Loop Header: Depth=1
                                        ;     Child Loop BB38_33 Depth 2
	v_ashrrev_i32_e32 v1, 31, v0
	v_lshlrev_b64 v[2:3], 3, v[0:1]
	v_add_co_u32_e32 v2, vcc, s16, v2
	v_addc_co_u32_e32 v3, vcc, v8, v3, vcc
	global_load_dwordx2 v[2:3], v[2:3], off glc slc
	v_lshlrev_b64 v[4:5], 2, v[0:1]
	v_add_co_u32_e32 v4, vcc, s18, v4
	v_addc_co_u32_e32 v5, vcc, v10, v5, vcc
	global_load_dword v1, v[4:5], off glc slc
	s_waitcnt vmcnt(1)
	v_subrev_co_u32_e32 v2, vcc, s40, v2
	v_subb_co_u32_e32 v3, vcc, v3, v9, vcc
	v_cmp_eq_u64_e32 vcc, s[20:21], v[2:3]
	s_and_b64 s[4:5], s[26:27], vcc
	s_waitcnt vmcnt(0)
	v_cmp_eq_f32_e64 s[2:3], 0, v1
	s_and_b64 s[2:3], s[2:3], s[4:5]
	s_and_saveexec_b64 s[4:5], s[2:3]
	s_cbranch_execz .LBB38_12
; %bb.9:                                ;   in Loop: Header=BB38_8 Depth=1
	v_mbcnt_lo_u32_b32 v1, exec_lo, 0
	v_mbcnt_hi_u32_b32 v1, exec_hi, v1
	v_cmp_eq_u32_e64 s[2:3], 0, v1
	s_and_saveexec_b64 s[34:35], s[2:3]
	s_cbranch_execz .LBB38_11
; %bb.10:                               ;   in Loop: Header=BB38_8 Depth=1
	v_pk_mov_b32 v[4:5], s[28:29], s[28:29] op_sel:[0,1]
	global_atomic_umin_x2 v11, v[4:5], s[24:25]
.LBB38_11:                              ;   in Loop: Header=BB38_8 Depth=1
	s_or_b64 exec, exec, s[34:35]
	v_mov_b32_e32 v1, 1.0
.LBB38_12:                              ;   in Loop: Header=BB38_8 Depth=1
	s_or_b64 exec, exec, s[4:5]
	v_cmp_ne_u64_e64 s[2:3], s[20:21], v[2:3]
	s_cmp_lt_i32 s9, 1
	s_mov_b64 s[34:35], 0
	s_cbranch_scc1 .LBB38_21
; %bb.13:                               ;   in Loop: Header=BB38_8 Depth=1
	s_cmp_eq_u32 s9, 1
	s_cbranch_scc0 .LBB38_22
; %bb.14:                               ;   in Loop: Header=BB38_8 Depth=1
	v_cmp_le_i64_e64 s[4:5], s[20:21], v[2:3]
	s_mov_b64 s[36:37], 0
	s_and_saveexec_b64 s[38:39], s[4:5]
	s_cbranch_execz .LBB38_20
; %bb.15:                               ;   in Loop: Header=BB38_8 Depth=1
	s_mov_b64 s[36:37], -1
	s_and_saveexec_b64 s[4:5], vcc
	s_xor_b64 s[4:5], exec, s[4:5]
	s_cbranch_execz .LBB38_19
; %bb.16:                               ;   in Loop: Header=BB38_8 Depth=1
	s_and_b64 vcc, exec, s[0:1]
	s_cbranch_vccnz .LBB38_18
; %bb.17:                               ;   in Loop: Header=BB38_8 Depth=1
	v_div_scale_f32 v4, s[36:37], v1, v1, 1.0
	v_rcp_f32_e32 v5, v4
	v_div_scale_f32 v12, vcc, 1.0, v1, 1.0
	v_fma_f32 v13, -v4, v5, 1.0
	v_fmac_f32_e32 v5, v13, v5
	v_mul_f32_e32 v13, v12, v5
	v_fma_f32 v14, -v4, v13, v12
	v_fmac_f32_e32 v13, v14, v5
	v_fma_f32 v4, -v4, v13, v12
	v_div_fmas_f32 v4, v4, v5, v13
	v_div_fixup_f32 v4, v4, v1, 1.0
	v_mov_b32_e32 v5, s8
	ds_write_b32 v5, v4
.LBB38_18:                              ;   in Loop: Header=BB38_8 Depth=1
	s_xor_b64 s[36:37], exec, -1
.LBB38_19:                              ;   in Loop: Header=BB38_8 Depth=1
	s_or_b64 exec, exec, s[4:5]
	s_and_b64 s[36:37], s[36:37], exec
.LBB38_20:                              ;   in Loop: Header=BB38_8 Depth=1
	s_or_b64 exec, exec, s[38:39]
	s_mov_b32 s17, 4
	v_mov_b32_e32 v4, v7
	s_branch .LBB38_23
.LBB38_21:                              ;   in Loop: Header=BB38_8 Depth=1
	s_mov_b64 s[36:37], 0
                                        ; implicit-def: $sgpr17
                                        ; implicit-def: $vgpr4
	s_cbranch_execnz .LBB38_24
	s_branch .LBB38_26
.LBB38_22:                              ;   in Loop: Header=BB38_8 Depth=1
	s_mov_b64 s[36:37], -1
                                        ; implicit-def: $sgpr17
                                        ; implicit-def: $vgpr4
.LBB38_23:                              ;   in Loop: Header=BB38_8 Depth=1
	s_branch .LBB38_26
.LBB38_24:                              ;   in Loop: Header=BB38_8 Depth=1
	s_cmp_eq_u32 s9, 0
	s_cbranch_scc1 .LBB38_28
; %bb.25:                               ;   in Loop: Header=BB38_8 Depth=1
	s_mov_b64 s[36:37], -1
                                        ; implicit-def: $sgpr17
                                        ; implicit-def: $vgpr4
.LBB38_26:                              ;   in Loop: Header=BB38_8 Depth=1
	v_mov_b32_e32 v5, s17
	s_and_saveexec_b64 s[2:3], s[36:37]
	s_cbranch_execnz .LBB38_31
.LBB38_27:                              ;   in Loop: Header=BB38_8 Depth=1
	s_or_b64 exec, exec, s[2:3]
	s_and_saveexec_b64 s[2:3], s[34:35]
	s_cbranch_execnz .LBB38_35
	s_branch .LBB38_38
.LBB38_28:                              ;   in Loop: Header=BB38_8 Depth=1
	v_cmp_ge_i64_e32 vcc, s[20:21], v[2:3]
	s_mov_b64 s[36:37], 0
	s_and_saveexec_b64 s[4:5], vcc
; %bb.29:                               ;   in Loop: Header=BB38_8 Depth=1
	s_mov_b64 s[34:35], exec
	s_and_b64 s[36:37], s[2:3], exec
; %bb.30:                               ;   in Loop: Header=BB38_8 Depth=1
	s_or_b64 exec, exec, s[4:5]
	s_mov_b32 s17, 2
	v_mov_b32_e32 v4, v7
	v_mov_b32_e32 v5, s17
	s_and_saveexec_b64 s[2:3], s[36:37]
	s_cbranch_execz .LBB38_27
.LBB38_31:                              ;   in Loop: Header=BB38_8 Depth=1
	v_lshlrev_b64 v[2:3], 2, v[2:3]
	v_mov_b32_e32 v5, s15
	v_add_co_u32_e32 v4, vcc, s14, v2
	v_addc_co_u32_e32 v5, vcc, v5, v3, vcc
	global_load_dword v12, v[4:5], off glc
	s_waitcnt vmcnt(0)
	v_cmp_eq_u32_e32 vcc, 0, v12
	s_and_saveexec_b64 s[4:5], vcc
	s_cbranch_execz .LBB38_34
; %bb.32:                               ;   in Loop: Header=BB38_8 Depth=1
	s_mov_b64 s[36:37], 0
.LBB38_33:                              ;   Parent Loop BB38_8 Depth=1
                                        ; =>  This Inner Loop Header: Depth=2
	global_load_dword v12, v[4:5], off glc
	s_waitcnt vmcnt(0)
	v_cmp_ne_u32_e32 vcc, 0, v12
	s_or_b64 s[36:37], vcc, s[36:37]
	s_andn2_b64 exec, exec, s[36:37]
	s_cbranch_execnz .LBB38_33
.LBB38_34:                              ;   in Loop: Header=BB38_8 Depth=1
	s_or_b64 exec, exec, s[4:5]
	v_mov_b32_e32 v4, s13
	v_add_co_u32_e32 v2, vcc, s12, v2
	v_addc_co_u32_e32 v3, vcc, v4, v3, vcc
	s_waitcnt lgkmcnt(0)
	buffer_wbinvl1_vol
	global_load_dword v2, v[2:3], off
	v_mov_b32_e32 v5, 0
	s_andn2_b64 s[34:35], s[34:35], exec
	s_waitcnt vmcnt(0)
	v_fma_f32 v4, -v1, v2, v7
	s_or_b64 exec, exec, s[2:3]
	s_and_saveexec_b64 s[2:3], s[34:35]
	s_cbranch_execz .LBB38_38
.LBB38_35:                              ;   in Loop: Header=BB38_8 Depth=1
	s_and_b64 vcc, exec, s[0:1]
	s_cbranch_vccnz .LBB38_37
; %bb.36:                               ;   in Loop: Header=BB38_8 Depth=1
	v_div_scale_f32 v2, s[4:5], v1, v1, 1.0
	v_rcp_f32_e32 v3, v2
	v_div_scale_f32 v4, vcc, 1.0, v1, 1.0
	v_fma_f32 v5, -v2, v3, 1.0
	v_fmac_f32_e32 v3, v5, v3
	v_mul_f32_e32 v5, v4, v3
	v_fma_f32 v12, -v2, v5, v4
	v_fmac_f32_e32 v5, v12, v3
	v_fma_f32 v2, -v2, v5, v4
	v_div_fmas_f32 v2, v2, v3, v5
	v_div_fixup_f32 v1, v2, v1, 1.0
	v_mov_b32_e32 v2, s8
	ds_write_b32 v2, v1
.LBB38_37:                              ;   in Loop: Header=BB38_8 Depth=1
	v_mov_b32_e32 v5, 2
	v_mov_b32_e32 v4, v7
.LBB38_38:                              ;   in Loop: Header=BB38_8 Depth=1
	s_or_b64 exec, exec, s[2:3]
	v_cmp_gt_i32_e32 vcc, 4, v5
	s_mov_b64 s[2:3], -1
	s_mov_b64 s[4:5], -1
	s_and_saveexec_b64 s[34:35], vcc
; %bb.39:                               ;   in Loop: Header=BB38_8 Depth=1
	v_cmp_eq_u32_e32 vcc, 0, v5
	s_orn2_b64 s[4:5], vcc, exec
; %bb.40:                               ;   in Loop: Header=BB38_8 Depth=1
	s_or_b64 exec, exec, s[34:35]
	s_and_saveexec_b64 s[34:35], s[4:5]
	s_cbranch_execz .LBB38_7
; %bb.41:                               ;   in Loop: Header=BB38_8 Depth=1
	v_add_u32_e32 v0, 64, v0
	v_cmp_le_i32_e32 vcc, s33, v0
	s_orn2_b64 s[2:3], vcc, exec
	s_branch .LBB38_7
.LBB38_42:
	s_or_b64 exec, exec, s[30:31]
	v_mov_b32_e32 v7, v4
.LBB38_43:
	s_or_b64 exec, exec, s[22:23]
	s_nop 0
	v_mov_b32_dpp v0, v7 row_shr:1 row_mask:0xf bank_mask:0xf
	v_add_f32_e32 v0, v7, v0
	s_cmp_lg_u32 s10, 0
	s_nop 0
	v_mov_b32_dpp v1, v0 row_shr:2 row_mask:0xf bank_mask:0xf
	v_add_f32_e32 v0, v0, v1
	s_nop 1
	v_mov_b32_dpp v1, v0 row_shr:4 row_mask:0xf bank_mask:0xe
	v_add_f32_e32 v0, v0, v1
	;; [unrolled: 3-line block ×3, first 2 shown]
	s_nop 1
	v_mov_b32_dpp v1, v0 row_bcast:15 row_mask:0xa bank_mask:0xf
	v_add_f32_e32 v0, v0, v1
	s_nop 1
	v_mov_b32_dpp v1, v0 row_bcast:31 row_mask:0xc bank_mask:0xf
	v_add_f32_e32 v0, v0, v1
	s_cbranch_scc0 .LBB38_47
; %bb.44:
	v_cmp_eq_u32_e32 vcc, 63, v6
	s_and_saveexec_b64 s[0:1], vcc
	s_cbranch_execz .LBB38_46
.LBB38_45:
	s_add_u32 s0, s12, s6
	s_addc_u32 s1, s13, s7
	v_mov_b32_e32 v1, 0
	s_add_u32 s2, s14, s6
	s_addc_u32 s3, s15, s7
	global_store_dword v1, v0, s[0:1] glc slc
	v_mov_b32_e32 v0, 1
	s_waitcnt vmcnt(0)
	global_store_dword v1, v0, s[2:3]
.LBB38_46:
	s_endpgm
.LBB38_47:
	s_lshl_b32 s0, s11, 2
	v_mov_b32_e32 v1, s0
	s_waitcnt lgkmcnt(0)
	ds_read_b32 v1, v1
	s_waitcnt lgkmcnt(0)
	v_mul_f32_e32 v0, v0, v1
	v_cmp_eq_u32_e32 vcc, 63, v6
	s_and_saveexec_b64 s[0:1], vcc
	s_cbranch_execnz .LBB38_45
	s_branch .LBB38_46
	.section	.rodata,"a",@progbits
	.p2align	6, 0x0
	.amdhsa_kernel _ZN9rocsparseL12csrsv_kernelILj1024ELj64ELb0EilfEEvT3_NS_24const_host_device_scalarIT4_EEPKT2_PKS1_PKS3_SB_lPS3_PiS9_iPS1_21rocsparse_index_base_20rocsparse_fill_mode_20rocsparse_diag_type_b
		.amdhsa_group_segment_fixed_size 64
		.amdhsa_private_segment_fixed_size 0
		.amdhsa_kernarg_size 112
		.amdhsa_user_sgpr_count 6
		.amdhsa_user_sgpr_private_segment_buffer 1
		.amdhsa_user_sgpr_dispatch_ptr 0
		.amdhsa_user_sgpr_queue_ptr 0
		.amdhsa_user_sgpr_kernarg_segment_ptr 1
		.amdhsa_user_sgpr_dispatch_id 0
		.amdhsa_user_sgpr_flat_scratch_init 0
		.amdhsa_user_sgpr_kernarg_preload_length 0
		.amdhsa_user_sgpr_kernarg_preload_offset 0
		.amdhsa_user_sgpr_private_segment_size 0
		.amdhsa_uses_dynamic_stack 0
		.amdhsa_system_sgpr_private_segment_wavefront_offset 0
		.amdhsa_system_sgpr_workgroup_id_x 1
		.amdhsa_system_sgpr_workgroup_id_y 0
		.amdhsa_system_sgpr_workgroup_id_z 0
		.amdhsa_system_sgpr_workgroup_info 0
		.amdhsa_system_vgpr_workitem_id 0
		.amdhsa_next_free_vgpr 15
		.amdhsa_next_free_sgpr 41
		.amdhsa_accum_offset 16
		.amdhsa_reserve_vcc 1
		.amdhsa_reserve_flat_scratch 0
		.amdhsa_float_round_mode_32 0
		.amdhsa_float_round_mode_16_64 0
		.amdhsa_float_denorm_mode_32 3
		.amdhsa_float_denorm_mode_16_64 3
		.amdhsa_dx10_clamp 1
		.amdhsa_ieee_mode 1
		.amdhsa_fp16_overflow 0
		.amdhsa_tg_split 0
		.amdhsa_exception_fp_ieee_invalid_op 0
		.amdhsa_exception_fp_denorm_src 0
		.amdhsa_exception_fp_ieee_div_zero 0
		.amdhsa_exception_fp_ieee_overflow 0
		.amdhsa_exception_fp_ieee_underflow 0
		.amdhsa_exception_fp_ieee_inexact 0
		.amdhsa_exception_int_div_zero 0
	.end_amdhsa_kernel
	.section	.text._ZN9rocsparseL12csrsv_kernelILj1024ELj64ELb0EilfEEvT3_NS_24const_host_device_scalarIT4_EEPKT2_PKS1_PKS3_SB_lPS3_PiS9_iPS1_21rocsparse_index_base_20rocsparse_fill_mode_20rocsparse_diag_type_b,"axG",@progbits,_ZN9rocsparseL12csrsv_kernelILj1024ELj64ELb0EilfEEvT3_NS_24const_host_device_scalarIT4_EEPKT2_PKS1_PKS3_SB_lPS3_PiS9_iPS1_21rocsparse_index_base_20rocsparse_fill_mode_20rocsparse_diag_type_b,comdat
.Lfunc_end38:
	.size	_ZN9rocsparseL12csrsv_kernelILj1024ELj64ELb0EilfEEvT3_NS_24const_host_device_scalarIT4_EEPKT2_PKS1_PKS3_SB_lPS3_PiS9_iPS1_21rocsparse_index_base_20rocsparse_fill_mode_20rocsparse_diag_type_b, .Lfunc_end38-_ZN9rocsparseL12csrsv_kernelILj1024ELj64ELb0EilfEEvT3_NS_24const_host_device_scalarIT4_EEPKT2_PKS1_PKS3_SB_lPS3_PiS9_iPS1_21rocsparse_index_base_20rocsparse_fill_mode_20rocsparse_diag_type_b
                                        ; -- End function
	.section	.AMDGPU.csdata,"",@progbits
; Kernel info:
; codeLenInByte = 1372
; NumSgprs: 45
; NumVgprs: 15
; NumAgprs: 0
; TotalNumVgprs: 15
; ScratchSize: 0
; MemoryBound: 0
; FloatMode: 240
; IeeeMode: 1
; LDSByteSize: 64 bytes/workgroup (compile time only)
; SGPRBlocks: 5
; VGPRBlocks: 1
; NumSGPRsForWavesPerEU: 45
; NumVGPRsForWavesPerEU: 15
; AccumOffset: 16
; Occupancy: 8
; WaveLimiterHint : 1
; COMPUTE_PGM_RSRC2:SCRATCH_EN: 0
; COMPUTE_PGM_RSRC2:USER_SGPR: 6
; COMPUTE_PGM_RSRC2:TRAP_HANDLER: 0
; COMPUTE_PGM_RSRC2:TGID_X_EN: 1
; COMPUTE_PGM_RSRC2:TGID_Y_EN: 0
; COMPUTE_PGM_RSRC2:TGID_Z_EN: 0
; COMPUTE_PGM_RSRC2:TIDIG_COMP_CNT: 0
; COMPUTE_PGM_RSRC3_GFX90A:ACCUM_OFFSET: 3
; COMPUTE_PGM_RSRC3_GFX90A:TG_SPLIT: 0
	.section	.text._ZN9rocsparseL12csrsv_kernelILj1024ELj64ELb1EildEEvT3_NS_24const_host_device_scalarIT4_EEPKT2_PKS1_PKS3_SB_lPS3_PiS9_iPS1_21rocsparse_index_base_20rocsparse_fill_mode_20rocsparse_diag_type_b,"axG",@progbits,_ZN9rocsparseL12csrsv_kernelILj1024ELj64ELb1EildEEvT3_NS_24const_host_device_scalarIT4_EEPKT2_PKS1_PKS3_SB_lPS3_PiS9_iPS1_21rocsparse_index_base_20rocsparse_fill_mode_20rocsparse_diag_type_b,comdat
	.globl	_ZN9rocsparseL12csrsv_kernelILj1024ELj64ELb1EildEEvT3_NS_24const_host_device_scalarIT4_EEPKT2_PKS1_PKS3_SB_lPS3_PiS9_iPS1_21rocsparse_index_base_20rocsparse_fill_mode_20rocsparse_diag_type_b ; -- Begin function _ZN9rocsparseL12csrsv_kernelILj1024ELj64ELb1EildEEvT3_NS_24const_host_device_scalarIT4_EEPKT2_PKS1_PKS3_SB_lPS3_PiS9_iPS1_21rocsparse_index_base_20rocsparse_fill_mode_20rocsparse_diag_type_b
	.p2align	8
	.type	_ZN9rocsparseL12csrsv_kernelILj1024ELj64ELb1EildEEvT3_NS_24const_host_device_scalarIT4_EEPKT2_PKS1_PKS3_SB_lPS3_PiS9_iPS1_21rocsparse_index_base_20rocsparse_fill_mode_20rocsparse_diag_type_b,@function
_ZN9rocsparseL12csrsv_kernelILj1024ELj64ELb1EildEEvT3_NS_24const_host_device_scalarIT4_EEPKT2_PKS1_PKS3_SB_lPS3_PiS9_iPS1_21rocsparse_index_base_20rocsparse_fill_mode_20rocsparse_diag_type_b: ; @_ZN9rocsparseL12csrsv_kernelILj1024ELj64ELb1EildEEvT3_NS_24const_host_device_scalarIT4_EEPKT2_PKS1_PKS3_SB_lPS3_PiS9_iPS1_21rocsparse_index_base_20rocsparse_fill_mode_20rocsparse_diag_type_b
; %bb.0:
	s_load_dwordx4 s[8:11], s[4:5], 0x60
	s_load_dwordx4 s[0:3], s[4:5], 0x0
	s_waitcnt lgkmcnt(0)
	s_bitcmp1_b32 s11, 0
	s_cselect_b64 s[12:13], -1, 0
	s_and_b64 vcc, exec, s[12:13]
	v_pk_mov_b32 v[4:5], s[2:3], s[2:3] op_sel:[0,1]
	s_cbranch_vccnz .LBB39_2
; %bb.1:
	v_pk_mov_b32 v[2:3], s[2:3], s[2:3] op_sel:[0,1]
	flat_load_dwordx2 v[4:5], v[2:3]
.LBB39_2:
	v_lshrrev_b32_e32 v1, 6, v0
	v_mov_b32_e32 v2, s0
	v_readfirstlane_b32 s11, v1
	s_lshl_b32 s0, s6, 4
	v_mov_b32_e32 v3, s1
	s_add_i32 s0, s11, s0
	s_mov_b32 s1, 0
	v_cmp_ge_i64_e32 vcc, s[0:1], v[2:3]
	s_cbranch_vccnz .LBB39_48
; %bb.3:
	s_load_dword s2, s[4:5], 0x50
	s_load_dwordx2 s[6:7], s[4:5], 0x48
	s_lshl_b64 s[0:1], s[0:1], 3
	v_and_b32_e32 v10, 63, v0
	v_cmp_eq_u32_e32 vcc, 0, v10
	s_waitcnt lgkmcnt(0)
	s_ashr_i32 s3, s2, 31
	s_add_u32 s6, s6, s0
	s_addc_u32 s7, s7, s1
	s_lshl_b64 s[0:1], s[2:3], 3
	s_add_u32 s0, s6, s0
	s_addc_u32 s1, s7, s1
	s_load_dwordx2 s[20:21], s[0:1], 0x0
	s_load_dwordx2 s[2:3], s[4:5], 0x10
	s_load_dwordx4 s[12:15], s[4:5], 0x38
	v_pk_mov_b32 v[2:3], 0, 0
	s_waitcnt lgkmcnt(0)
	s_lshl_b64 s[6:7], s[20:21], 2
	s_add_u32 s0, s2, s6
	s_addc_u32 s1, s3, s7
	s_load_dwordx2 s[0:1], s[0:1], 0x0
	s_and_saveexec_b64 s[2:3], vcc
	s_cbranch_execz .LBB39_5
; %bb.4:
	s_load_dwordx4 s[16:19], s[4:5], 0x28
	s_waitcnt lgkmcnt(0)
	s_mul_i32 s19, s20, s19
	s_mul_hi_u32 s22, s20, s18
	s_mul_i32 s23, s21, s18
	s_add_i32 s19, s22, s19
	s_add_i32 s19, s19, s23
	s_mul_i32 s18, s20, s18
	s_lshl_b64 s[18:19], s[18:19], 3
	s_add_u32 s16, s16, s18
	s_addc_u32 s17, s17, s19
	s_load_dwordx2 s[16:17], s[16:17], 0x0
	s_waitcnt vmcnt(0) lgkmcnt(0)
	v_mul_f64 v[2:3], v[4:5], s[16:17]
.LBB39_5:
	s_or_b64 exec, exec, s[2:3]
	v_subrev_u32_e32 v0, s8, v10
	s_waitcnt lgkmcnt(0)
	s_sub_i32 s33, s1, s8
	v_add_u32_e32 v0, s0, v0
	v_cmp_gt_i32_e32 vcc, s33, v0
	s_and_saveexec_b64 s[22:23], vcc
	s_cbranch_execz .LBB39_45
; %bb.6:
	s_load_dwordx2 s[24:25], s[4:5], 0x58
	s_load_dwordx4 s[16:19], s[4:5], 0x18
	s_cmp_eq_u32 s10, 0
	s_cselect_b64 s[26:27], -1, 0
	s_mov_b32 s0, 0
	s_add_u32 s28, s20, s8
	v_cndmask_b32_e64 v1, 0, 1, s[26:27]
	s_mov_b32 s40, s8
	s_addc_u32 s29, s21, 0
	s_lshl_b32 s8, s11, 3
	s_mov_b64 s[30:31], 0
	s_waitcnt lgkmcnt(0)
	v_mov_b32_e32 v11, s17
	v_mov_b32_e32 v12, s0
	;; [unrolled: 1-line block ×4, first 2 shown]
	v_cmp_ne_u32_e64 s[0:1], 1, v1
	s_branch .LBB39_8
.LBB39_7:                               ;   in Loop: Header=BB39_8 Depth=1
	s_or_b64 exec, exec, s[34:35]
	s_and_b64 s[2:3], exec, s[2:3]
	s_or_b64 s[30:31], s[2:3], s[30:31]
	v_pk_mov_b32 v[2:3], v[8:9], v[8:9] op_sel:[0,1]
	s_andn2_b64 exec, exec, s[30:31]
	s_cbranch_execz .LBB39_44
.LBB39_8:                               ; =>This Loop Header: Depth=1
                                        ;     Child Loop BB39_34 Depth 2
                                        ;       Child Loop BB39_35 Depth 3
	v_ashrrev_i32_e32 v1, 31, v0
	s_waitcnt vmcnt(0)
	v_lshlrev_b64 v[4:5], 3, v[0:1]
	v_add_co_u32_e32 v6, vcc, s16, v4
	v_addc_co_u32_e32 v7, vcc, v11, v5, vcc
	global_load_dwordx2 v[6:7], v[6:7], off glc slc
	v_add_co_u32_e32 v4, vcc, s18, v4
	v_addc_co_u32_e32 v5, vcc, v13, v5, vcc
	global_load_dwordx2 v[4:5], v[4:5], off glc slc
	s_waitcnt vmcnt(1)
	v_subrev_co_u32_e32 v6, vcc, s40, v6
	v_subb_co_u32_e32 v7, vcc, v7, v12, vcc
	v_cmp_eq_u64_e32 vcc, s[20:21], v[6:7]
	s_waitcnt vmcnt(0)
	v_cmp_eq_f64_e64 s[2:3], 0, v[4:5]
	s_and_b64 s[4:5], s[26:27], vcc
	s_and_b64 s[2:3], s[2:3], s[4:5]
	s_and_saveexec_b64 s[4:5], s[2:3]
	s_cbranch_execz .LBB39_12
; %bb.9:                                ;   in Loop: Header=BB39_8 Depth=1
	v_mbcnt_lo_u32_b32 v1, exec_lo, 0
	v_mbcnt_hi_u32_b32 v1, exec_hi, v1
	v_cmp_eq_u32_e64 s[2:3], 0, v1
	s_and_saveexec_b64 s[34:35], s[2:3]
	s_cbranch_execz .LBB39_11
; %bb.10:                               ;   in Loop: Header=BB39_8 Depth=1
	v_pk_mov_b32 v[4:5], s[28:29], s[28:29] op_sel:[0,1]
	global_atomic_umin_x2 v14, v[4:5], s[24:25]
.LBB39_11:                              ;   in Loop: Header=BB39_8 Depth=1
	s_or_b64 exec, exec, s[34:35]
	v_mov_b32_e32 v4, 0
	v_mov_b32_e32 v5, 0x3ff00000
.LBB39_12:                              ;   in Loop: Header=BB39_8 Depth=1
	s_or_b64 exec, exec, s[4:5]
	v_cmp_ne_u64_e64 s[2:3], s[20:21], v[6:7]
	s_cmp_lt_i32 s9, 1
	s_mov_b64 s[34:35], 0
	s_cbranch_scc1 .LBB39_21
; %bb.13:                               ;   in Loop: Header=BB39_8 Depth=1
	s_cmp_eq_u32 s9, 1
	s_cbranch_scc0 .LBB39_22
; %bb.14:                               ;   in Loop: Header=BB39_8 Depth=1
	v_cmp_le_i64_e64 s[4:5], s[20:21], v[6:7]
	s_mov_b64 s[36:37], 0
	s_and_saveexec_b64 s[38:39], s[4:5]
	s_cbranch_execz .LBB39_20
; %bb.15:                               ;   in Loop: Header=BB39_8 Depth=1
	s_mov_b64 s[36:37], -1
	s_and_saveexec_b64 s[4:5], vcc
	s_xor_b64 s[4:5], exec, s[4:5]
	s_cbranch_execz .LBB39_19
; %bb.16:                               ;   in Loop: Header=BB39_8 Depth=1
	s_and_b64 vcc, exec, s[0:1]
	s_cbranch_vccnz .LBB39_18
; %bb.17:                               ;   in Loop: Header=BB39_8 Depth=1
	v_div_scale_f64 v[8:9], s[36:37], v[4:5], v[4:5], 1.0
	v_rcp_f64_e32 v[16:17], v[8:9]
	v_div_scale_f64 v[18:19], vcc, 1.0, v[4:5], 1.0
	v_mov_b32_e32 v1, s8
	v_fma_f64 v[20:21], -v[8:9], v[16:17], 1.0
	v_fmac_f64_e32 v[16:17], v[16:17], v[20:21]
	v_fma_f64 v[20:21], -v[8:9], v[16:17], 1.0
	v_fmac_f64_e32 v[16:17], v[16:17], v[20:21]
	v_mul_f64 v[20:21], v[18:19], v[16:17]
	v_fma_f64 v[8:9], -v[8:9], v[20:21], v[18:19]
	v_div_fmas_f64 v[8:9], v[8:9], v[16:17], v[20:21]
	v_div_fixup_f64 v[8:9], v[8:9], v[4:5], 1.0
	ds_write_b64 v1, v[8:9]
.LBB39_18:                              ;   in Loop: Header=BB39_8 Depth=1
	s_xor_b64 s[36:37], exec, -1
.LBB39_19:                              ;   in Loop: Header=BB39_8 Depth=1
	s_or_b64 exec, exec, s[4:5]
	s_and_b64 s[36:37], s[36:37], exec
.LBB39_20:                              ;   in Loop: Header=BB39_8 Depth=1
	s_or_b64 exec, exec, s[38:39]
	s_mov_b32 s17, 4
	v_pk_mov_b32 v[8:9], v[2:3], v[2:3] op_sel:[0,1]
	s_branch .LBB39_23
.LBB39_21:                              ;   in Loop: Header=BB39_8 Depth=1
	s_mov_b64 s[36:37], 0
                                        ; implicit-def: $sgpr17
                                        ; implicit-def: $vgpr8_vgpr9
	s_cbranch_execnz .LBB39_24
	s_branch .LBB39_26
.LBB39_22:                              ;   in Loop: Header=BB39_8 Depth=1
	s_mov_b64 s[36:37], -1
                                        ; implicit-def: $sgpr17
                                        ; implicit-def: $vgpr8_vgpr9
.LBB39_23:                              ;   in Loop: Header=BB39_8 Depth=1
	s_branch .LBB39_26
.LBB39_24:                              ;   in Loop: Header=BB39_8 Depth=1
	s_cmp_eq_u32 s9, 0
	s_cbranch_scc1 .LBB39_28
; %bb.25:                               ;   in Loop: Header=BB39_8 Depth=1
	s_mov_b64 s[36:37], -1
                                        ; implicit-def: $sgpr17
                                        ; implicit-def: $vgpr8_vgpr9
.LBB39_26:                              ;   in Loop: Header=BB39_8 Depth=1
	v_mov_b32_e32 v1, s17
	s_and_saveexec_b64 s[2:3], s[36:37]
	s_cbranch_execnz .LBB39_31
.LBB39_27:                              ;   in Loop: Header=BB39_8 Depth=1
	s_or_b64 exec, exec, s[2:3]
	s_and_saveexec_b64 s[2:3], s[34:35]
	s_cbranch_execnz .LBB39_37
	s_branch .LBB39_40
.LBB39_28:                              ;   in Loop: Header=BB39_8 Depth=1
	v_cmp_ge_i64_e32 vcc, s[20:21], v[6:7]
	s_mov_b64 s[36:37], 0
	s_and_saveexec_b64 s[4:5], vcc
; %bb.29:                               ;   in Loop: Header=BB39_8 Depth=1
	s_mov_b64 s[34:35], exec
	s_and_b64 s[36:37], s[2:3], exec
; %bb.30:                               ;   in Loop: Header=BB39_8 Depth=1
	s_or_b64 exec, exec, s[4:5]
	s_mov_b32 s17, 2
	v_pk_mov_b32 v[8:9], v[2:3], v[2:3] op_sel:[0,1]
	v_mov_b32_e32 v1, s17
	s_and_saveexec_b64 s[2:3], s[36:37]
	s_cbranch_execz .LBB39_27
.LBB39_31:                              ;   in Loop: Header=BB39_8 Depth=1
	v_lshlrev_b64 v[8:9], 2, v[6:7]
	v_mov_b32_e32 v1, s15
	v_add_co_u32_e32 v8, vcc, s14, v8
	v_addc_co_u32_e32 v9, vcc, v1, v9, vcc
	global_load_dword v1, v[8:9], off glc
	s_waitcnt vmcnt(0)
	v_cmp_eq_u32_e32 vcc, 0, v1
	s_and_saveexec_b64 s[4:5], vcc
	s_cbranch_execz .LBB39_36
; %bb.32:                               ;   in Loop: Header=BB39_8 Depth=1
	s_mov_b32 s17, 0
	s_mov_b64 s[36:37], 0
	s_branch .LBB39_34
.LBB39_33:                              ;   in Loop: Header=BB39_34 Depth=2
	global_load_dword v1, v[8:9], off glc
	s_cmpk_lt_u32 s17, 0xf43
	s_cselect_b64 s[38:39], -1, 0
	s_cmp_lg_u64 s[38:39], 0
	s_addc_u32 s17, s17, 0
	s_waitcnt vmcnt(0)
	v_cmp_ne_u32_e32 vcc, 0, v1
	s_or_b64 s[36:37], vcc, s[36:37]
	s_andn2_b64 exec, exec, s[36:37]
	s_cbranch_execz .LBB39_36
.LBB39_34:                              ;   Parent Loop BB39_8 Depth=1
                                        ; =>  This Loop Header: Depth=2
                                        ;       Child Loop BB39_35 Depth 3
	s_cmp_eq_u32 s17, 0
	s_mov_b32 s19, s17
	s_cbranch_scc1 .LBB39_33
.LBB39_35:                              ;   Parent Loop BB39_8 Depth=1
                                        ;     Parent Loop BB39_34 Depth=2
                                        ; =>    This Inner Loop Header: Depth=3
	s_add_i32 s19, s19, -1
	s_cmp_eq_u32 s19, 0
	s_sleep 1
	s_cbranch_scc0 .LBB39_35
	s_branch .LBB39_33
.LBB39_36:                              ;   in Loop: Header=BB39_8 Depth=1
	s_or_b64 exec, exec, s[4:5]
	v_lshlrev_b64 v[6:7], 3, v[6:7]
	v_mov_b32_e32 v1, s13
	v_add_co_u32_e32 v6, vcc, s12, v6
	v_addc_co_u32_e32 v7, vcc, v1, v7, vcc
	s_waitcnt lgkmcnt(0)
	buffer_wbinvl1_vol
	global_load_dwordx2 v[6:7], v[6:7], off
	v_mov_b32_e32 v1, 0
	s_andn2_b64 s[34:35], s[34:35], exec
	s_waitcnt vmcnt(0)
	v_fma_f64 v[8:9], -v[4:5], v[6:7], v[2:3]
	s_or_b64 exec, exec, s[2:3]
	s_and_saveexec_b64 s[2:3], s[34:35]
	s_cbranch_execz .LBB39_40
.LBB39_37:                              ;   in Loop: Header=BB39_8 Depth=1
	s_and_b64 vcc, exec, s[0:1]
	s_cbranch_vccnz .LBB39_39
; %bb.38:                               ;   in Loop: Header=BB39_8 Depth=1
	v_div_scale_f64 v[6:7], s[4:5], v[4:5], v[4:5], 1.0
	v_rcp_f64_e32 v[8:9], v[6:7]
	v_div_scale_f64 v[16:17], vcc, 1.0, v[4:5], 1.0
	v_mov_b32_e32 v1, s8
	v_fma_f64 v[18:19], -v[6:7], v[8:9], 1.0
	v_fmac_f64_e32 v[8:9], v[8:9], v[18:19]
	v_fma_f64 v[18:19], -v[6:7], v[8:9], 1.0
	v_fmac_f64_e32 v[8:9], v[8:9], v[18:19]
	v_mul_f64 v[18:19], v[16:17], v[8:9]
	v_fma_f64 v[6:7], -v[6:7], v[18:19], v[16:17]
	v_div_fmas_f64 v[6:7], v[6:7], v[8:9], v[18:19]
	v_div_fixup_f64 v[4:5], v[6:7], v[4:5], 1.0
	ds_write_b64 v1, v[4:5]
.LBB39_39:                              ;   in Loop: Header=BB39_8 Depth=1
	v_mov_b32_e32 v1, 2
	v_pk_mov_b32 v[8:9], v[2:3], v[2:3] op_sel:[0,1]
.LBB39_40:                              ;   in Loop: Header=BB39_8 Depth=1
	s_or_b64 exec, exec, s[2:3]
	v_cmp_gt_i32_e32 vcc, 4, v1
	s_mov_b64 s[2:3], -1
	s_mov_b64 s[4:5], -1
	s_and_saveexec_b64 s[34:35], vcc
; %bb.41:                               ;   in Loop: Header=BB39_8 Depth=1
	v_cmp_eq_u32_e32 vcc, 0, v1
	s_orn2_b64 s[4:5], vcc, exec
; %bb.42:                               ;   in Loop: Header=BB39_8 Depth=1
	s_or_b64 exec, exec, s[34:35]
	s_and_saveexec_b64 s[34:35], s[4:5]
	s_cbranch_execz .LBB39_7
; %bb.43:                               ;   in Loop: Header=BB39_8 Depth=1
	v_add_u32_e32 v0, 64, v0
	v_cmp_le_i32_e32 vcc, s33, v0
	s_orn2_b64 s[2:3], vcc, exec
	s_branch .LBB39_7
.LBB39_44:
	s_or_b64 exec, exec, s[30:31]
	v_pk_mov_b32 v[2:3], v[8:9], v[8:9] op_sel:[0,1]
.LBB39_45:
	s_or_b64 exec, exec, s[22:23]
	s_nop 0
	v_mov_b32_dpp v0, v2 row_shr:1 row_mask:0xf bank_mask:0xf
	v_mov_b32_dpp v1, v3 row_shr:1 row_mask:0xf bank_mask:0xf
	v_add_f64 v[0:1], v[2:3], v[0:1]
	s_cmp_lg_u32 s10, 0
	s_nop 0
	v_mov_b32_dpp v2, v0 row_shr:2 row_mask:0xf bank_mask:0xf
	v_mov_b32_dpp v3, v1 row_shr:2 row_mask:0xf bank_mask:0xf
	v_add_f64 v[0:1], v[0:1], v[2:3]
	s_nop 1
	v_mov_b32_dpp v2, v0 row_shr:4 row_mask:0xf bank_mask:0xe
	v_mov_b32_dpp v3, v1 row_shr:4 row_mask:0xf bank_mask:0xe
	v_add_f64 v[0:1], v[0:1], v[2:3]
	;; [unrolled: 4-line block ×3, first 2 shown]
	s_nop 1
	v_mov_b32_dpp v2, v0 row_bcast:15 row_mask:0xa bank_mask:0xf
	v_mov_b32_dpp v3, v1 row_bcast:15 row_mask:0xa bank_mask:0xf
	v_add_f64 v[0:1], v[0:1], v[2:3]
	s_nop 1
	v_mov_b32_dpp v2, v0 row_bcast:31 row_mask:0xc bank_mask:0xf
	v_mov_b32_dpp v3, v1 row_bcast:31 row_mask:0xc bank_mask:0xf
	v_add_f64 v[0:1], v[0:1], v[2:3]
	s_cbranch_scc0 .LBB39_49
; %bb.46:
	v_cmp_eq_u32_e32 vcc, 63, v10
	s_and_saveexec_b64 s[0:1], vcc
	s_cbranch_execz .LBB39_48
.LBB39_47:
	s_lshl_b64 s[0:1], s[20:21], 3
	s_add_u32 s0, s12, s0
	s_addc_u32 s1, s13, s1
	v_mov_b32_e32 v2, 0
	s_add_u32 s2, s14, s6
	s_addc_u32 s3, s15, s7
	global_store_dwordx2 v2, v[0:1], s[0:1] glc slc
	v_mov_b32_e32 v0, 1
	s_waitcnt vmcnt(0)
	global_store_dword v2, v0, s[2:3]
.LBB39_48:
	s_endpgm
.LBB39_49:
	s_lshl_b32 s0, s11, 3
	v_mov_b32_e32 v2, s0
	s_waitcnt lgkmcnt(0)
	ds_read_b64 v[2:3], v2
	s_waitcnt lgkmcnt(0)
	v_mul_f64 v[0:1], v[0:1], v[2:3]
	v_cmp_eq_u32_e32 vcc, 63, v10
	s_and_saveexec_b64 s[0:1], vcc
	s_cbranch_execnz .LBB39_47
	s_branch .LBB39_48
	.section	.rodata,"a",@progbits
	.p2align	6, 0x0
	.amdhsa_kernel _ZN9rocsparseL12csrsv_kernelILj1024ELj64ELb1EildEEvT3_NS_24const_host_device_scalarIT4_EEPKT2_PKS1_PKS3_SB_lPS3_PiS9_iPS1_21rocsparse_index_base_20rocsparse_fill_mode_20rocsparse_diag_type_b
		.amdhsa_group_segment_fixed_size 128
		.amdhsa_private_segment_fixed_size 0
		.amdhsa_kernarg_size 112
		.amdhsa_user_sgpr_count 6
		.amdhsa_user_sgpr_private_segment_buffer 1
		.amdhsa_user_sgpr_dispatch_ptr 0
		.amdhsa_user_sgpr_queue_ptr 0
		.amdhsa_user_sgpr_kernarg_segment_ptr 1
		.amdhsa_user_sgpr_dispatch_id 0
		.amdhsa_user_sgpr_flat_scratch_init 0
		.amdhsa_user_sgpr_kernarg_preload_length 0
		.amdhsa_user_sgpr_kernarg_preload_offset 0
		.amdhsa_user_sgpr_private_segment_size 0
		.amdhsa_uses_dynamic_stack 0
		.amdhsa_system_sgpr_private_segment_wavefront_offset 0
		.amdhsa_system_sgpr_workgroup_id_x 1
		.amdhsa_system_sgpr_workgroup_id_y 0
		.amdhsa_system_sgpr_workgroup_id_z 0
		.amdhsa_system_sgpr_workgroup_info 0
		.amdhsa_system_vgpr_workitem_id 0
		.amdhsa_next_free_vgpr 22
		.amdhsa_next_free_sgpr 41
		.amdhsa_accum_offset 24
		.amdhsa_reserve_vcc 1
		.amdhsa_reserve_flat_scratch 0
		.amdhsa_float_round_mode_32 0
		.amdhsa_float_round_mode_16_64 0
		.amdhsa_float_denorm_mode_32 3
		.amdhsa_float_denorm_mode_16_64 3
		.amdhsa_dx10_clamp 1
		.amdhsa_ieee_mode 1
		.amdhsa_fp16_overflow 0
		.amdhsa_tg_split 0
		.amdhsa_exception_fp_ieee_invalid_op 0
		.amdhsa_exception_fp_denorm_src 0
		.amdhsa_exception_fp_ieee_div_zero 0
		.amdhsa_exception_fp_ieee_overflow 0
		.amdhsa_exception_fp_ieee_underflow 0
		.amdhsa_exception_fp_ieee_inexact 0
		.amdhsa_exception_int_div_zero 0
	.end_amdhsa_kernel
	.section	.text._ZN9rocsparseL12csrsv_kernelILj1024ELj64ELb1EildEEvT3_NS_24const_host_device_scalarIT4_EEPKT2_PKS1_PKS3_SB_lPS3_PiS9_iPS1_21rocsparse_index_base_20rocsparse_fill_mode_20rocsparse_diag_type_b,"axG",@progbits,_ZN9rocsparseL12csrsv_kernelILj1024ELj64ELb1EildEEvT3_NS_24const_host_device_scalarIT4_EEPKT2_PKS1_PKS3_SB_lPS3_PiS9_iPS1_21rocsparse_index_base_20rocsparse_fill_mode_20rocsparse_diag_type_b,comdat
.Lfunc_end39:
	.size	_ZN9rocsparseL12csrsv_kernelILj1024ELj64ELb1EildEEvT3_NS_24const_host_device_scalarIT4_EEPKT2_PKS1_PKS3_SB_lPS3_PiS9_iPS1_21rocsparse_index_base_20rocsparse_fill_mode_20rocsparse_diag_type_b, .Lfunc_end39-_ZN9rocsparseL12csrsv_kernelILj1024ELj64ELb1EildEEvT3_NS_24const_host_device_scalarIT4_EEPKT2_PKS1_PKS3_SB_lPS3_PiS9_iPS1_21rocsparse_index_base_20rocsparse_fill_mode_20rocsparse_diag_type_b
                                        ; -- End function
	.section	.AMDGPU.csdata,"",@progbits
; Kernel info:
; codeLenInByte = 1568
; NumSgprs: 45
; NumVgprs: 22
; NumAgprs: 0
; TotalNumVgprs: 22
; ScratchSize: 0
; MemoryBound: 0
; FloatMode: 240
; IeeeMode: 1
; LDSByteSize: 128 bytes/workgroup (compile time only)
; SGPRBlocks: 5
; VGPRBlocks: 2
; NumSGPRsForWavesPerEU: 45
; NumVGPRsForWavesPerEU: 22
; AccumOffset: 24
; Occupancy: 8
; WaveLimiterHint : 1
; COMPUTE_PGM_RSRC2:SCRATCH_EN: 0
; COMPUTE_PGM_RSRC2:USER_SGPR: 6
; COMPUTE_PGM_RSRC2:TRAP_HANDLER: 0
; COMPUTE_PGM_RSRC2:TGID_X_EN: 1
; COMPUTE_PGM_RSRC2:TGID_Y_EN: 0
; COMPUTE_PGM_RSRC2:TGID_Z_EN: 0
; COMPUTE_PGM_RSRC2:TIDIG_COMP_CNT: 0
; COMPUTE_PGM_RSRC3_GFX90A:ACCUM_OFFSET: 5
; COMPUTE_PGM_RSRC3_GFX90A:TG_SPLIT: 0
	.section	.text._ZN9rocsparseL12csrsv_kernelILj1024ELj32ELb0EildEEvT3_NS_24const_host_device_scalarIT4_EEPKT2_PKS1_PKS3_SB_lPS3_PiS9_iPS1_21rocsparse_index_base_20rocsparse_fill_mode_20rocsparse_diag_type_b,"axG",@progbits,_ZN9rocsparseL12csrsv_kernelILj1024ELj32ELb0EildEEvT3_NS_24const_host_device_scalarIT4_EEPKT2_PKS1_PKS3_SB_lPS3_PiS9_iPS1_21rocsparse_index_base_20rocsparse_fill_mode_20rocsparse_diag_type_b,comdat
	.globl	_ZN9rocsparseL12csrsv_kernelILj1024ELj32ELb0EildEEvT3_NS_24const_host_device_scalarIT4_EEPKT2_PKS1_PKS3_SB_lPS3_PiS9_iPS1_21rocsparse_index_base_20rocsparse_fill_mode_20rocsparse_diag_type_b ; -- Begin function _ZN9rocsparseL12csrsv_kernelILj1024ELj32ELb0EildEEvT3_NS_24const_host_device_scalarIT4_EEPKT2_PKS1_PKS3_SB_lPS3_PiS9_iPS1_21rocsparse_index_base_20rocsparse_fill_mode_20rocsparse_diag_type_b
	.p2align	8
	.type	_ZN9rocsparseL12csrsv_kernelILj1024ELj32ELb0EildEEvT3_NS_24const_host_device_scalarIT4_EEPKT2_PKS1_PKS3_SB_lPS3_PiS9_iPS1_21rocsparse_index_base_20rocsparse_fill_mode_20rocsparse_diag_type_b,@function
_ZN9rocsparseL12csrsv_kernelILj1024ELj32ELb0EildEEvT3_NS_24const_host_device_scalarIT4_EEPKT2_PKS1_PKS3_SB_lPS3_PiS9_iPS1_21rocsparse_index_base_20rocsparse_fill_mode_20rocsparse_diag_type_b: ; @_ZN9rocsparseL12csrsv_kernelILj1024ELj32ELb0EildEEvT3_NS_24const_host_device_scalarIT4_EEPKT2_PKS1_PKS3_SB_lPS3_PiS9_iPS1_21rocsparse_index_base_20rocsparse_fill_mode_20rocsparse_diag_type_b
; %bb.0:
	s_load_dwordx4 s[8:11], s[4:5], 0x60
	s_load_dwordx4 s[0:3], s[4:5], 0x0
	s_waitcnt lgkmcnt(0)
	s_bitcmp1_b32 s11, 0
	s_cselect_b64 s[12:13], -1, 0
	s_and_b64 vcc, exec, s[12:13]
	v_pk_mov_b32 v[4:5], s[2:3], s[2:3] op_sel:[0,1]
	s_cbranch_vccnz .LBB40_2
; %bb.1:
	v_pk_mov_b32 v[2:3], s[2:3], s[2:3] op_sel:[0,1]
	flat_load_dwordx2 v[4:5], v[2:3]
.LBB40_2:
	v_lshrrev_b32_e32 v1, 5, v0
	v_mov_b32_e32 v2, s0
	v_readfirstlane_b32 s11, v1
	s_lshl_b32 s0, s6, 5
	v_mov_b32_e32 v3, s1
	s_add_i32 s0, s11, s0
	s_mov_b32 s1, 0
	v_cmp_ge_i64_e32 vcc, s[0:1], v[2:3]
	s_cbranch_vccnz .LBB40_46
; %bb.3:
	s_load_dword s2, s[4:5], 0x50
	s_load_dwordx2 s[6:7], s[4:5], 0x48
	s_lshl_b64 s[0:1], s[0:1], 3
	v_and_b32_e32 v10, 31, v0
	v_cmp_eq_u32_e32 vcc, 0, v10
	s_waitcnt lgkmcnt(0)
	s_ashr_i32 s3, s2, 31
	s_add_u32 s6, s6, s0
	s_addc_u32 s7, s7, s1
	s_lshl_b64 s[0:1], s[2:3], 3
	s_add_u32 s0, s6, s0
	s_addc_u32 s1, s7, s1
	s_load_dwordx2 s[20:21], s[0:1], 0x0
	s_load_dwordx2 s[2:3], s[4:5], 0x10
	s_load_dwordx4 s[12:15], s[4:5], 0x38
	v_pk_mov_b32 v[2:3], 0, 0
	s_waitcnt lgkmcnt(0)
	s_lshl_b64 s[6:7], s[20:21], 2
	s_add_u32 s0, s2, s6
	s_addc_u32 s1, s3, s7
	s_load_dwordx2 s[0:1], s[0:1], 0x0
	s_and_saveexec_b64 s[2:3], vcc
	s_cbranch_execz .LBB40_5
; %bb.4:
	s_load_dwordx4 s[16:19], s[4:5], 0x28
	s_waitcnt lgkmcnt(0)
	s_mul_i32 s19, s20, s19
	s_mul_hi_u32 s22, s20, s18
	s_mul_i32 s23, s21, s18
	s_add_i32 s19, s22, s19
	s_add_i32 s19, s19, s23
	s_mul_i32 s18, s20, s18
	s_lshl_b64 s[18:19], s[18:19], 3
	s_add_u32 s16, s16, s18
	s_addc_u32 s17, s17, s19
	s_load_dwordx2 s[16:17], s[16:17], 0x0
	s_waitcnt vmcnt(0) lgkmcnt(0)
	v_mul_f64 v[2:3], v[4:5], s[16:17]
.LBB40_5:
	s_or_b64 exec, exec, s[2:3]
	v_subrev_u32_e32 v0, s8, v10
	s_waitcnt lgkmcnt(0)
	s_sub_i32 s33, s1, s8
	v_add_u32_e32 v0, s0, v0
	v_cmp_gt_i32_e32 vcc, s33, v0
	s_and_saveexec_b64 s[22:23], vcc
	s_cbranch_execz .LBB40_43
; %bb.6:
	s_load_dwordx2 s[24:25], s[4:5], 0x58
	s_load_dwordx4 s[16:19], s[4:5], 0x18
	s_cmp_eq_u32 s10, 0
	s_cselect_b64 s[26:27], -1, 0
	s_mov_b32 s0, 0
	s_add_u32 s28, s20, s8
	v_cndmask_b32_e64 v1, 0, 1, s[26:27]
	s_mov_b32 s40, s8
	s_addc_u32 s29, s21, 0
	s_lshl_b32 s8, s11, 3
	s_mov_b64 s[30:31], 0
	s_waitcnt lgkmcnt(0)
	v_mov_b32_e32 v11, s17
	v_mov_b32_e32 v12, s0
	;; [unrolled: 1-line block ×4, first 2 shown]
	v_cmp_ne_u32_e64 s[0:1], 1, v1
	s_branch .LBB40_8
.LBB40_7:                               ;   in Loop: Header=BB40_8 Depth=1
	s_or_b64 exec, exec, s[34:35]
	s_and_b64 s[2:3], exec, s[2:3]
	s_or_b64 s[30:31], s[2:3], s[30:31]
	v_pk_mov_b32 v[2:3], v[8:9], v[8:9] op_sel:[0,1]
	s_andn2_b64 exec, exec, s[30:31]
	s_cbranch_execz .LBB40_42
.LBB40_8:                               ; =>This Loop Header: Depth=1
                                        ;     Child Loop BB40_33 Depth 2
	v_ashrrev_i32_e32 v1, 31, v0
	s_waitcnt vmcnt(0)
	v_lshlrev_b64 v[4:5], 3, v[0:1]
	v_add_co_u32_e32 v6, vcc, s16, v4
	v_addc_co_u32_e32 v7, vcc, v11, v5, vcc
	global_load_dwordx2 v[6:7], v[6:7], off glc slc
	v_add_co_u32_e32 v4, vcc, s18, v4
	v_addc_co_u32_e32 v5, vcc, v13, v5, vcc
	global_load_dwordx2 v[4:5], v[4:5], off glc slc
	s_waitcnt vmcnt(1)
	v_subrev_co_u32_e32 v6, vcc, s40, v6
	v_subb_co_u32_e32 v7, vcc, v7, v12, vcc
	v_cmp_eq_u64_e32 vcc, s[20:21], v[6:7]
	s_waitcnt vmcnt(0)
	v_cmp_eq_f64_e64 s[2:3], 0, v[4:5]
	s_and_b64 s[4:5], s[26:27], vcc
	s_and_b64 s[2:3], s[2:3], s[4:5]
	s_and_saveexec_b64 s[4:5], s[2:3]
	s_cbranch_execz .LBB40_12
; %bb.9:                                ;   in Loop: Header=BB40_8 Depth=1
	v_mbcnt_lo_u32_b32 v1, exec_lo, 0
	v_mbcnt_hi_u32_b32 v1, exec_hi, v1
	v_cmp_eq_u32_e64 s[2:3], 0, v1
	s_and_saveexec_b64 s[34:35], s[2:3]
	s_cbranch_execz .LBB40_11
; %bb.10:                               ;   in Loop: Header=BB40_8 Depth=1
	v_pk_mov_b32 v[4:5], s[28:29], s[28:29] op_sel:[0,1]
	global_atomic_umin_x2 v14, v[4:5], s[24:25]
.LBB40_11:                              ;   in Loop: Header=BB40_8 Depth=1
	s_or_b64 exec, exec, s[34:35]
	v_mov_b32_e32 v4, 0
	v_mov_b32_e32 v5, 0x3ff00000
.LBB40_12:                              ;   in Loop: Header=BB40_8 Depth=1
	s_or_b64 exec, exec, s[4:5]
	v_cmp_ne_u64_e64 s[2:3], s[20:21], v[6:7]
	s_cmp_lt_i32 s9, 1
	s_mov_b64 s[34:35], 0
	s_cbranch_scc1 .LBB40_21
; %bb.13:                               ;   in Loop: Header=BB40_8 Depth=1
	s_cmp_eq_u32 s9, 1
	s_cbranch_scc0 .LBB40_22
; %bb.14:                               ;   in Loop: Header=BB40_8 Depth=1
	v_cmp_le_i64_e64 s[4:5], s[20:21], v[6:7]
	s_mov_b64 s[36:37], 0
	s_and_saveexec_b64 s[38:39], s[4:5]
	s_cbranch_execz .LBB40_20
; %bb.15:                               ;   in Loop: Header=BB40_8 Depth=1
	s_mov_b64 s[36:37], -1
	s_and_saveexec_b64 s[4:5], vcc
	s_xor_b64 s[4:5], exec, s[4:5]
	s_cbranch_execz .LBB40_19
; %bb.16:                               ;   in Loop: Header=BB40_8 Depth=1
	s_and_b64 vcc, exec, s[0:1]
	s_cbranch_vccnz .LBB40_18
; %bb.17:                               ;   in Loop: Header=BB40_8 Depth=1
	v_div_scale_f64 v[8:9], s[36:37], v[4:5], v[4:5], 1.0
	v_rcp_f64_e32 v[16:17], v[8:9]
	v_div_scale_f64 v[18:19], vcc, 1.0, v[4:5], 1.0
	v_mov_b32_e32 v1, s8
	v_fma_f64 v[20:21], -v[8:9], v[16:17], 1.0
	v_fmac_f64_e32 v[16:17], v[16:17], v[20:21]
	v_fma_f64 v[20:21], -v[8:9], v[16:17], 1.0
	v_fmac_f64_e32 v[16:17], v[16:17], v[20:21]
	v_mul_f64 v[20:21], v[18:19], v[16:17]
	v_fma_f64 v[8:9], -v[8:9], v[20:21], v[18:19]
	v_div_fmas_f64 v[8:9], v[8:9], v[16:17], v[20:21]
	v_div_fixup_f64 v[8:9], v[8:9], v[4:5], 1.0
	ds_write_b64 v1, v[8:9]
.LBB40_18:                              ;   in Loop: Header=BB40_8 Depth=1
	s_xor_b64 s[36:37], exec, -1
.LBB40_19:                              ;   in Loop: Header=BB40_8 Depth=1
	s_or_b64 exec, exec, s[4:5]
	s_and_b64 s[36:37], s[36:37], exec
.LBB40_20:                              ;   in Loop: Header=BB40_8 Depth=1
	s_or_b64 exec, exec, s[38:39]
	s_mov_b32 s17, 4
	v_pk_mov_b32 v[8:9], v[2:3], v[2:3] op_sel:[0,1]
	s_branch .LBB40_23
.LBB40_21:                              ;   in Loop: Header=BB40_8 Depth=1
	s_mov_b64 s[36:37], 0
                                        ; implicit-def: $sgpr17
                                        ; implicit-def: $vgpr8_vgpr9
	s_cbranch_execnz .LBB40_24
	s_branch .LBB40_26
.LBB40_22:                              ;   in Loop: Header=BB40_8 Depth=1
	s_mov_b64 s[36:37], -1
                                        ; implicit-def: $sgpr17
                                        ; implicit-def: $vgpr8_vgpr9
.LBB40_23:                              ;   in Loop: Header=BB40_8 Depth=1
	s_branch .LBB40_26
.LBB40_24:                              ;   in Loop: Header=BB40_8 Depth=1
	s_cmp_eq_u32 s9, 0
	s_cbranch_scc1 .LBB40_28
; %bb.25:                               ;   in Loop: Header=BB40_8 Depth=1
	s_mov_b64 s[36:37], -1
                                        ; implicit-def: $sgpr17
                                        ; implicit-def: $vgpr8_vgpr9
.LBB40_26:                              ;   in Loop: Header=BB40_8 Depth=1
	v_mov_b32_e32 v1, s17
	s_and_saveexec_b64 s[2:3], s[36:37]
	s_cbranch_execnz .LBB40_31
.LBB40_27:                              ;   in Loop: Header=BB40_8 Depth=1
	s_or_b64 exec, exec, s[2:3]
	s_and_saveexec_b64 s[2:3], s[34:35]
	s_cbranch_execnz .LBB40_35
	s_branch .LBB40_38
.LBB40_28:                              ;   in Loop: Header=BB40_8 Depth=1
	v_cmp_ge_i64_e32 vcc, s[20:21], v[6:7]
	s_mov_b64 s[36:37], 0
	s_and_saveexec_b64 s[4:5], vcc
; %bb.29:                               ;   in Loop: Header=BB40_8 Depth=1
	s_mov_b64 s[34:35], exec
	s_and_b64 s[36:37], s[2:3], exec
; %bb.30:                               ;   in Loop: Header=BB40_8 Depth=1
	s_or_b64 exec, exec, s[4:5]
	s_mov_b32 s17, 2
	v_pk_mov_b32 v[8:9], v[2:3], v[2:3] op_sel:[0,1]
	v_mov_b32_e32 v1, s17
	s_and_saveexec_b64 s[2:3], s[36:37]
	s_cbranch_execz .LBB40_27
.LBB40_31:                              ;   in Loop: Header=BB40_8 Depth=1
	v_lshlrev_b64 v[8:9], 2, v[6:7]
	v_mov_b32_e32 v1, s15
	v_add_co_u32_e32 v8, vcc, s14, v8
	v_addc_co_u32_e32 v9, vcc, v1, v9, vcc
	global_load_dword v1, v[8:9], off glc
	s_waitcnt vmcnt(0)
	v_cmp_eq_u32_e32 vcc, 0, v1
	s_and_saveexec_b64 s[4:5], vcc
	s_cbranch_execz .LBB40_34
; %bb.32:                               ;   in Loop: Header=BB40_8 Depth=1
	s_mov_b64 s[36:37], 0
.LBB40_33:                              ;   Parent Loop BB40_8 Depth=1
                                        ; =>  This Inner Loop Header: Depth=2
	global_load_dword v1, v[8:9], off glc
	s_waitcnt vmcnt(0)
	v_cmp_ne_u32_e32 vcc, 0, v1
	s_or_b64 s[36:37], vcc, s[36:37]
	s_andn2_b64 exec, exec, s[36:37]
	s_cbranch_execnz .LBB40_33
.LBB40_34:                              ;   in Loop: Header=BB40_8 Depth=1
	s_or_b64 exec, exec, s[4:5]
	v_lshlrev_b64 v[6:7], 3, v[6:7]
	v_mov_b32_e32 v1, s13
	v_add_co_u32_e32 v6, vcc, s12, v6
	v_addc_co_u32_e32 v7, vcc, v1, v7, vcc
	s_waitcnt lgkmcnt(0)
	buffer_wbinvl1_vol
	global_load_dwordx2 v[6:7], v[6:7], off
	v_mov_b32_e32 v1, 0
	s_andn2_b64 s[34:35], s[34:35], exec
	s_waitcnt vmcnt(0)
	v_fma_f64 v[8:9], -v[4:5], v[6:7], v[2:3]
	s_or_b64 exec, exec, s[2:3]
	s_and_saveexec_b64 s[2:3], s[34:35]
	s_cbranch_execz .LBB40_38
.LBB40_35:                              ;   in Loop: Header=BB40_8 Depth=1
	s_and_b64 vcc, exec, s[0:1]
	s_cbranch_vccnz .LBB40_37
; %bb.36:                               ;   in Loop: Header=BB40_8 Depth=1
	v_div_scale_f64 v[6:7], s[4:5], v[4:5], v[4:5], 1.0
	v_rcp_f64_e32 v[8:9], v[6:7]
	v_div_scale_f64 v[16:17], vcc, 1.0, v[4:5], 1.0
	v_mov_b32_e32 v1, s8
	v_fma_f64 v[18:19], -v[6:7], v[8:9], 1.0
	v_fmac_f64_e32 v[8:9], v[8:9], v[18:19]
	v_fma_f64 v[18:19], -v[6:7], v[8:9], 1.0
	v_fmac_f64_e32 v[8:9], v[8:9], v[18:19]
	v_mul_f64 v[18:19], v[16:17], v[8:9]
	v_fma_f64 v[6:7], -v[6:7], v[18:19], v[16:17]
	v_div_fmas_f64 v[6:7], v[6:7], v[8:9], v[18:19]
	v_div_fixup_f64 v[4:5], v[6:7], v[4:5], 1.0
	ds_write_b64 v1, v[4:5]
.LBB40_37:                              ;   in Loop: Header=BB40_8 Depth=1
	v_mov_b32_e32 v1, 2
	v_pk_mov_b32 v[8:9], v[2:3], v[2:3] op_sel:[0,1]
.LBB40_38:                              ;   in Loop: Header=BB40_8 Depth=1
	s_or_b64 exec, exec, s[2:3]
	v_cmp_gt_i32_e32 vcc, 4, v1
	s_mov_b64 s[2:3], -1
	s_mov_b64 s[4:5], -1
	s_and_saveexec_b64 s[34:35], vcc
; %bb.39:                               ;   in Loop: Header=BB40_8 Depth=1
	v_cmp_eq_u32_e32 vcc, 0, v1
	s_orn2_b64 s[4:5], vcc, exec
; %bb.40:                               ;   in Loop: Header=BB40_8 Depth=1
	s_or_b64 exec, exec, s[34:35]
	s_and_saveexec_b64 s[34:35], s[4:5]
	s_cbranch_execz .LBB40_7
; %bb.41:                               ;   in Loop: Header=BB40_8 Depth=1
	v_add_u32_e32 v0, 32, v0
	v_cmp_le_i32_e32 vcc, s33, v0
	s_orn2_b64 s[2:3], vcc, exec
	s_branch .LBB40_7
.LBB40_42:
	s_or_b64 exec, exec, s[30:31]
	v_pk_mov_b32 v[2:3], v[8:9], v[8:9] op_sel:[0,1]
.LBB40_43:
	s_or_b64 exec, exec, s[22:23]
	s_nop 0
	v_mov_b32_dpp v0, v2 row_shr:1 row_mask:0xf bank_mask:0xf
	v_mov_b32_dpp v1, v3 row_shr:1 row_mask:0xf bank_mask:0xf
	v_add_f64 v[0:1], v[2:3], v[0:1]
	s_cmp_lg_u32 s10, 0
	s_nop 0
	v_mov_b32_dpp v2, v0 row_shr:2 row_mask:0xf bank_mask:0xf
	v_mov_b32_dpp v3, v1 row_shr:2 row_mask:0xf bank_mask:0xf
	v_add_f64 v[0:1], v[0:1], v[2:3]
	s_nop 1
	v_mov_b32_dpp v2, v0 row_shr:4 row_mask:0xf bank_mask:0xe
	v_mov_b32_dpp v3, v1 row_shr:4 row_mask:0xf bank_mask:0xe
	v_add_f64 v[0:1], v[0:1], v[2:3]
	;; [unrolled: 4-line block ×3, first 2 shown]
	s_nop 1
	v_mov_b32_dpp v2, v0 row_bcast:15 row_mask:0xa bank_mask:0xf
	v_mov_b32_dpp v3, v1 row_bcast:15 row_mask:0xa bank_mask:0xf
	v_add_f64 v[0:1], v[0:1], v[2:3]
	s_cbranch_scc0 .LBB40_47
; %bb.44:
	v_cmp_eq_u32_e32 vcc, 31, v10
	s_and_saveexec_b64 s[0:1], vcc
	s_cbranch_execz .LBB40_46
.LBB40_45:
	s_lshl_b64 s[0:1], s[20:21], 3
	s_add_u32 s0, s12, s0
	s_addc_u32 s1, s13, s1
	v_mov_b32_e32 v2, 0
	s_add_u32 s2, s14, s6
	s_addc_u32 s3, s15, s7
	global_store_dwordx2 v2, v[0:1], s[0:1] glc slc
	v_mov_b32_e32 v0, 1
	s_waitcnt vmcnt(0)
	global_store_dword v2, v0, s[2:3]
.LBB40_46:
	s_endpgm
.LBB40_47:
	s_lshl_b32 s0, s11, 3
	v_mov_b32_e32 v2, s0
	s_waitcnt lgkmcnt(0)
	ds_read_b64 v[2:3], v2
	s_waitcnt lgkmcnt(0)
	v_mul_f64 v[0:1], v[0:1], v[2:3]
	v_cmp_eq_u32_e32 vcc, 31, v10
	s_and_saveexec_b64 s[0:1], vcc
	s_cbranch_execnz .LBB40_45
	s_branch .LBB40_46
	.section	.rodata,"a",@progbits
	.p2align	6, 0x0
	.amdhsa_kernel _ZN9rocsparseL12csrsv_kernelILj1024ELj32ELb0EildEEvT3_NS_24const_host_device_scalarIT4_EEPKT2_PKS1_PKS3_SB_lPS3_PiS9_iPS1_21rocsparse_index_base_20rocsparse_fill_mode_20rocsparse_diag_type_b
		.amdhsa_group_segment_fixed_size 256
		.amdhsa_private_segment_fixed_size 0
		.amdhsa_kernarg_size 112
		.amdhsa_user_sgpr_count 6
		.amdhsa_user_sgpr_private_segment_buffer 1
		.amdhsa_user_sgpr_dispatch_ptr 0
		.amdhsa_user_sgpr_queue_ptr 0
		.amdhsa_user_sgpr_kernarg_segment_ptr 1
		.amdhsa_user_sgpr_dispatch_id 0
		.amdhsa_user_sgpr_flat_scratch_init 0
		.amdhsa_user_sgpr_kernarg_preload_length 0
		.amdhsa_user_sgpr_kernarg_preload_offset 0
		.amdhsa_user_sgpr_private_segment_size 0
		.amdhsa_uses_dynamic_stack 0
		.amdhsa_system_sgpr_private_segment_wavefront_offset 0
		.amdhsa_system_sgpr_workgroup_id_x 1
		.amdhsa_system_sgpr_workgroup_id_y 0
		.amdhsa_system_sgpr_workgroup_id_z 0
		.amdhsa_system_sgpr_workgroup_info 0
		.amdhsa_system_vgpr_workitem_id 0
		.amdhsa_next_free_vgpr 22
		.amdhsa_next_free_sgpr 41
		.amdhsa_accum_offset 24
		.amdhsa_reserve_vcc 1
		.amdhsa_reserve_flat_scratch 0
		.amdhsa_float_round_mode_32 0
		.amdhsa_float_round_mode_16_64 0
		.amdhsa_float_denorm_mode_32 3
		.amdhsa_float_denorm_mode_16_64 3
		.amdhsa_dx10_clamp 1
		.amdhsa_ieee_mode 1
		.amdhsa_fp16_overflow 0
		.amdhsa_tg_split 0
		.amdhsa_exception_fp_ieee_invalid_op 0
		.amdhsa_exception_fp_denorm_src 0
		.amdhsa_exception_fp_ieee_div_zero 0
		.amdhsa_exception_fp_ieee_overflow 0
		.amdhsa_exception_fp_ieee_underflow 0
		.amdhsa_exception_fp_ieee_inexact 0
		.amdhsa_exception_int_div_zero 0
	.end_amdhsa_kernel
	.section	.text._ZN9rocsparseL12csrsv_kernelILj1024ELj32ELb0EildEEvT3_NS_24const_host_device_scalarIT4_EEPKT2_PKS1_PKS3_SB_lPS3_PiS9_iPS1_21rocsparse_index_base_20rocsparse_fill_mode_20rocsparse_diag_type_b,"axG",@progbits,_ZN9rocsparseL12csrsv_kernelILj1024ELj32ELb0EildEEvT3_NS_24const_host_device_scalarIT4_EEPKT2_PKS1_PKS3_SB_lPS3_PiS9_iPS1_21rocsparse_index_base_20rocsparse_fill_mode_20rocsparse_diag_type_b,comdat
.Lfunc_end40:
	.size	_ZN9rocsparseL12csrsv_kernelILj1024ELj32ELb0EildEEvT3_NS_24const_host_device_scalarIT4_EEPKT2_PKS1_PKS3_SB_lPS3_PiS9_iPS1_21rocsparse_index_base_20rocsparse_fill_mode_20rocsparse_diag_type_b, .Lfunc_end40-_ZN9rocsparseL12csrsv_kernelILj1024ELj32ELb0EildEEvT3_NS_24const_host_device_scalarIT4_EEPKT2_PKS1_PKS3_SB_lPS3_PiS9_iPS1_21rocsparse_index_base_20rocsparse_fill_mode_20rocsparse_diag_type_b
                                        ; -- End function
	.section	.AMDGPU.csdata,"",@progbits
; Kernel info:
; codeLenInByte = 1484
; NumSgprs: 45
; NumVgprs: 22
; NumAgprs: 0
; TotalNumVgprs: 22
; ScratchSize: 0
; MemoryBound: 0
; FloatMode: 240
; IeeeMode: 1
; LDSByteSize: 256 bytes/workgroup (compile time only)
; SGPRBlocks: 5
; VGPRBlocks: 2
; NumSGPRsForWavesPerEU: 45
; NumVGPRsForWavesPerEU: 22
; AccumOffset: 24
; Occupancy: 8
; WaveLimiterHint : 1
; COMPUTE_PGM_RSRC2:SCRATCH_EN: 0
; COMPUTE_PGM_RSRC2:USER_SGPR: 6
; COMPUTE_PGM_RSRC2:TRAP_HANDLER: 0
; COMPUTE_PGM_RSRC2:TGID_X_EN: 1
; COMPUTE_PGM_RSRC2:TGID_Y_EN: 0
; COMPUTE_PGM_RSRC2:TGID_Z_EN: 0
; COMPUTE_PGM_RSRC2:TIDIG_COMP_CNT: 0
; COMPUTE_PGM_RSRC3_GFX90A:ACCUM_OFFSET: 5
; COMPUTE_PGM_RSRC3_GFX90A:TG_SPLIT: 0
	.section	.text._ZN9rocsparseL12csrsv_kernelILj1024ELj64ELb0EildEEvT3_NS_24const_host_device_scalarIT4_EEPKT2_PKS1_PKS3_SB_lPS3_PiS9_iPS1_21rocsparse_index_base_20rocsparse_fill_mode_20rocsparse_diag_type_b,"axG",@progbits,_ZN9rocsparseL12csrsv_kernelILj1024ELj64ELb0EildEEvT3_NS_24const_host_device_scalarIT4_EEPKT2_PKS1_PKS3_SB_lPS3_PiS9_iPS1_21rocsparse_index_base_20rocsparse_fill_mode_20rocsparse_diag_type_b,comdat
	.globl	_ZN9rocsparseL12csrsv_kernelILj1024ELj64ELb0EildEEvT3_NS_24const_host_device_scalarIT4_EEPKT2_PKS1_PKS3_SB_lPS3_PiS9_iPS1_21rocsparse_index_base_20rocsparse_fill_mode_20rocsparse_diag_type_b ; -- Begin function _ZN9rocsparseL12csrsv_kernelILj1024ELj64ELb0EildEEvT3_NS_24const_host_device_scalarIT4_EEPKT2_PKS1_PKS3_SB_lPS3_PiS9_iPS1_21rocsparse_index_base_20rocsparse_fill_mode_20rocsparse_diag_type_b
	.p2align	8
	.type	_ZN9rocsparseL12csrsv_kernelILj1024ELj64ELb0EildEEvT3_NS_24const_host_device_scalarIT4_EEPKT2_PKS1_PKS3_SB_lPS3_PiS9_iPS1_21rocsparse_index_base_20rocsparse_fill_mode_20rocsparse_diag_type_b,@function
_ZN9rocsparseL12csrsv_kernelILj1024ELj64ELb0EildEEvT3_NS_24const_host_device_scalarIT4_EEPKT2_PKS1_PKS3_SB_lPS3_PiS9_iPS1_21rocsparse_index_base_20rocsparse_fill_mode_20rocsparse_diag_type_b: ; @_ZN9rocsparseL12csrsv_kernelILj1024ELj64ELb0EildEEvT3_NS_24const_host_device_scalarIT4_EEPKT2_PKS1_PKS3_SB_lPS3_PiS9_iPS1_21rocsparse_index_base_20rocsparse_fill_mode_20rocsparse_diag_type_b
; %bb.0:
	s_load_dwordx4 s[8:11], s[4:5], 0x60
	s_load_dwordx4 s[0:3], s[4:5], 0x0
	s_waitcnt lgkmcnt(0)
	s_bitcmp1_b32 s11, 0
	s_cselect_b64 s[12:13], -1, 0
	s_and_b64 vcc, exec, s[12:13]
	v_pk_mov_b32 v[4:5], s[2:3], s[2:3] op_sel:[0,1]
	s_cbranch_vccnz .LBB41_2
; %bb.1:
	v_pk_mov_b32 v[2:3], s[2:3], s[2:3] op_sel:[0,1]
	flat_load_dwordx2 v[4:5], v[2:3]
.LBB41_2:
	v_lshrrev_b32_e32 v1, 6, v0
	v_mov_b32_e32 v2, s0
	v_readfirstlane_b32 s11, v1
	s_lshl_b32 s0, s6, 4
	v_mov_b32_e32 v3, s1
	s_add_i32 s0, s11, s0
	s_mov_b32 s1, 0
	v_cmp_ge_i64_e32 vcc, s[0:1], v[2:3]
	s_cbranch_vccnz .LBB41_46
; %bb.3:
	s_load_dword s2, s[4:5], 0x50
	s_load_dwordx2 s[6:7], s[4:5], 0x48
	s_lshl_b64 s[0:1], s[0:1], 3
	v_and_b32_e32 v10, 63, v0
	v_cmp_eq_u32_e32 vcc, 0, v10
	s_waitcnt lgkmcnt(0)
	s_ashr_i32 s3, s2, 31
	s_add_u32 s6, s6, s0
	s_addc_u32 s7, s7, s1
	s_lshl_b64 s[0:1], s[2:3], 3
	s_add_u32 s0, s6, s0
	s_addc_u32 s1, s7, s1
	s_load_dwordx2 s[20:21], s[0:1], 0x0
	s_load_dwordx2 s[2:3], s[4:5], 0x10
	s_load_dwordx4 s[12:15], s[4:5], 0x38
	v_pk_mov_b32 v[2:3], 0, 0
	s_waitcnt lgkmcnt(0)
	s_lshl_b64 s[6:7], s[20:21], 2
	s_add_u32 s0, s2, s6
	s_addc_u32 s1, s3, s7
	s_load_dwordx2 s[0:1], s[0:1], 0x0
	s_and_saveexec_b64 s[2:3], vcc
	s_cbranch_execz .LBB41_5
; %bb.4:
	s_load_dwordx4 s[16:19], s[4:5], 0x28
	s_waitcnt lgkmcnt(0)
	s_mul_i32 s19, s20, s19
	s_mul_hi_u32 s22, s20, s18
	s_mul_i32 s23, s21, s18
	s_add_i32 s19, s22, s19
	s_add_i32 s19, s19, s23
	s_mul_i32 s18, s20, s18
	s_lshl_b64 s[18:19], s[18:19], 3
	s_add_u32 s16, s16, s18
	s_addc_u32 s17, s17, s19
	s_load_dwordx2 s[16:17], s[16:17], 0x0
	s_waitcnt vmcnt(0) lgkmcnt(0)
	v_mul_f64 v[2:3], v[4:5], s[16:17]
.LBB41_5:
	s_or_b64 exec, exec, s[2:3]
	v_subrev_u32_e32 v0, s8, v10
	s_waitcnt lgkmcnt(0)
	s_sub_i32 s33, s1, s8
	v_add_u32_e32 v0, s0, v0
	v_cmp_gt_i32_e32 vcc, s33, v0
	s_and_saveexec_b64 s[22:23], vcc
	s_cbranch_execz .LBB41_43
; %bb.6:
	s_load_dwordx2 s[24:25], s[4:5], 0x58
	s_load_dwordx4 s[16:19], s[4:5], 0x18
	s_cmp_eq_u32 s10, 0
	s_cselect_b64 s[26:27], -1, 0
	s_mov_b32 s0, 0
	s_add_u32 s28, s20, s8
	v_cndmask_b32_e64 v1, 0, 1, s[26:27]
	s_mov_b32 s40, s8
	s_addc_u32 s29, s21, 0
	s_lshl_b32 s8, s11, 3
	s_mov_b64 s[30:31], 0
	s_waitcnt lgkmcnt(0)
	v_mov_b32_e32 v11, s17
	v_mov_b32_e32 v12, s0
	;; [unrolled: 1-line block ×4, first 2 shown]
	v_cmp_ne_u32_e64 s[0:1], 1, v1
	s_branch .LBB41_8
.LBB41_7:                               ;   in Loop: Header=BB41_8 Depth=1
	s_or_b64 exec, exec, s[34:35]
	s_and_b64 s[2:3], exec, s[2:3]
	s_or_b64 s[30:31], s[2:3], s[30:31]
	v_pk_mov_b32 v[2:3], v[8:9], v[8:9] op_sel:[0,1]
	s_andn2_b64 exec, exec, s[30:31]
	s_cbranch_execz .LBB41_42
.LBB41_8:                               ; =>This Loop Header: Depth=1
                                        ;     Child Loop BB41_33 Depth 2
	v_ashrrev_i32_e32 v1, 31, v0
	s_waitcnt vmcnt(0)
	v_lshlrev_b64 v[4:5], 3, v[0:1]
	v_add_co_u32_e32 v6, vcc, s16, v4
	v_addc_co_u32_e32 v7, vcc, v11, v5, vcc
	global_load_dwordx2 v[6:7], v[6:7], off glc slc
	v_add_co_u32_e32 v4, vcc, s18, v4
	v_addc_co_u32_e32 v5, vcc, v13, v5, vcc
	global_load_dwordx2 v[4:5], v[4:5], off glc slc
	s_waitcnt vmcnt(1)
	v_subrev_co_u32_e32 v6, vcc, s40, v6
	v_subb_co_u32_e32 v7, vcc, v7, v12, vcc
	v_cmp_eq_u64_e32 vcc, s[20:21], v[6:7]
	s_waitcnt vmcnt(0)
	v_cmp_eq_f64_e64 s[2:3], 0, v[4:5]
	s_and_b64 s[4:5], s[26:27], vcc
	s_and_b64 s[2:3], s[2:3], s[4:5]
	s_and_saveexec_b64 s[4:5], s[2:3]
	s_cbranch_execz .LBB41_12
; %bb.9:                                ;   in Loop: Header=BB41_8 Depth=1
	v_mbcnt_lo_u32_b32 v1, exec_lo, 0
	v_mbcnt_hi_u32_b32 v1, exec_hi, v1
	v_cmp_eq_u32_e64 s[2:3], 0, v1
	s_and_saveexec_b64 s[34:35], s[2:3]
	s_cbranch_execz .LBB41_11
; %bb.10:                               ;   in Loop: Header=BB41_8 Depth=1
	v_pk_mov_b32 v[4:5], s[28:29], s[28:29] op_sel:[0,1]
	global_atomic_umin_x2 v14, v[4:5], s[24:25]
.LBB41_11:                              ;   in Loop: Header=BB41_8 Depth=1
	s_or_b64 exec, exec, s[34:35]
	v_mov_b32_e32 v4, 0
	v_mov_b32_e32 v5, 0x3ff00000
.LBB41_12:                              ;   in Loop: Header=BB41_8 Depth=1
	s_or_b64 exec, exec, s[4:5]
	v_cmp_ne_u64_e64 s[2:3], s[20:21], v[6:7]
	s_cmp_lt_i32 s9, 1
	s_mov_b64 s[34:35], 0
	s_cbranch_scc1 .LBB41_21
; %bb.13:                               ;   in Loop: Header=BB41_8 Depth=1
	s_cmp_eq_u32 s9, 1
	s_cbranch_scc0 .LBB41_22
; %bb.14:                               ;   in Loop: Header=BB41_8 Depth=1
	v_cmp_le_i64_e64 s[4:5], s[20:21], v[6:7]
	s_mov_b64 s[36:37], 0
	s_and_saveexec_b64 s[38:39], s[4:5]
	s_cbranch_execz .LBB41_20
; %bb.15:                               ;   in Loop: Header=BB41_8 Depth=1
	s_mov_b64 s[36:37], -1
	s_and_saveexec_b64 s[4:5], vcc
	s_xor_b64 s[4:5], exec, s[4:5]
	s_cbranch_execz .LBB41_19
; %bb.16:                               ;   in Loop: Header=BB41_8 Depth=1
	s_and_b64 vcc, exec, s[0:1]
	s_cbranch_vccnz .LBB41_18
; %bb.17:                               ;   in Loop: Header=BB41_8 Depth=1
	v_div_scale_f64 v[8:9], s[36:37], v[4:5], v[4:5], 1.0
	v_rcp_f64_e32 v[16:17], v[8:9]
	v_div_scale_f64 v[18:19], vcc, 1.0, v[4:5], 1.0
	v_mov_b32_e32 v1, s8
	v_fma_f64 v[20:21], -v[8:9], v[16:17], 1.0
	v_fmac_f64_e32 v[16:17], v[16:17], v[20:21]
	v_fma_f64 v[20:21], -v[8:9], v[16:17], 1.0
	v_fmac_f64_e32 v[16:17], v[16:17], v[20:21]
	v_mul_f64 v[20:21], v[18:19], v[16:17]
	v_fma_f64 v[8:9], -v[8:9], v[20:21], v[18:19]
	v_div_fmas_f64 v[8:9], v[8:9], v[16:17], v[20:21]
	v_div_fixup_f64 v[8:9], v[8:9], v[4:5], 1.0
	ds_write_b64 v1, v[8:9]
.LBB41_18:                              ;   in Loop: Header=BB41_8 Depth=1
	s_xor_b64 s[36:37], exec, -1
.LBB41_19:                              ;   in Loop: Header=BB41_8 Depth=1
	s_or_b64 exec, exec, s[4:5]
	s_and_b64 s[36:37], s[36:37], exec
.LBB41_20:                              ;   in Loop: Header=BB41_8 Depth=1
	s_or_b64 exec, exec, s[38:39]
	s_mov_b32 s17, 4
	v_pk_mov_b32 v[8:9], v[2:3], v[2:3] op_sel:[0,1]
	s_branch .LBB41_23
.LBB41_21:                              ;   in Loop: Header=BB41_8 Depth=1
	s_mov_b64 s[36:37], 0
                                        ; implicit-def: $sgpr17
                                        ; implicit-def: $vgpr8_vgpr9
	s_cbranch_execnz .LBB41_24
	s_branch .LBB41_26
.LBB41_22:                              ;   in Loop: Header=BB41_8 Depth=1
	s_mov_b64 s[36:37], -1
                                        ; implicit-def: $sgpr17
                                        ; implicit-def: $vgpr8_vgpr9
.LBB41_23:                              ;   in Loop: Header=BB41_8 Depth=1
	s_branch .LBB41_26
.LBB41_24:                              ;   in Loop: Header=BB41_8 Depth=1
	s_cmp_eq_u32 s9, 0
	s_cbranch_scc1 .LBB41_28
; %bb.25:                               ;   in Loop: Header=BB41_8 Depth=1
	s_mov_b64 s[36:37], -1
                                        ; implicit-def: $sgpr17
                                        ; implicit-def: $vgpr8_vgpr9
.LBB41_26:                              ;   in Loop: Header=BB41_8 Depth=1
	v_mov_b32_e32 v1, s17
	s_and_saveexec_b64 s[2:3], s[36:37]
	s_cbranch_execnz .LBB41_31
.LBB41_27:                              ;   in Loop: Header=BB41_8 Depth=1
	s_or_b64 exec, exec, s[2:3]
	s_and_saveexec_b64 s[2:3], s[34:35]
	s_cbranch_execnz .LBB41_35
	s_branch .LBB41_38
.LBB41_28:                              ;   in Loop: Header=BB41_8 Depth=1
	v_cmp_ge_i64_e32 vcc, s[20:21], v[6:7]
	s_mov_b64 s[36:37], 0
	s_and_saveexec_b64 s[4:5], vcc
; %bb.29:                               ;   in Loop: Header=BB41_8 Depth=1
	s_mov_b64 s[34:35], exec
	s_and_b64 s[36:37], s[2:3], exec
; %bb.30:                               ;   in Loop: Header=BB41_8 Depth=1
	s_or_b64 exec, exec, s[4:5]
	s_mov_b32 s17, 2
	v_pk_mov_b32 v[8:9], v[2:3], v[2:3] op_sel:[0,1]
	v_mov_b32_e32 v1, s17
	s_and_saveexec_b64 s[2:3], s[36:37]
	s_cbranch_execz .LBB41_27
.LBB41_31:                              ;   in Loop: Header=BB41_8 Depth=1
	v_lshlrev_b64 v[8:9], 2, v[6:7]
	v_mov_b32_e32 v1, s15
	v_add_co_u32_e32 v8, vcc, s14, v8
	v_addc_co_u32_e32 v9, vcc, v1, v9, vcc
	global_load_dword v1, v[8:9], off glc
	s_waitcnt vmcnt(0)
	v_cmp_eq_u32_e32 vcc, 0, v1
	s_and_saveexec_b64 s[4:5], vcc
	s_cbranch_execz .LBB41_34
; %bb.32:                               ;   in Loop: Header=BB41_8 Depth=1
	s_mov_b64 s[36:37], 0
.LBB41_33:                              ;   Parent Loop BB41_8 Depth=1
                                        ; =>  This Inner Loop Header: Depth=2
	global_load_dword v1, v[8:9], off glc
	s_waitcnt vmcnt(0)
	v_cmp_ne_u32_e32 vcc, 0, v1
	s_or_b64 s[36:37], vcc, s[36:37]
	s_andn2_b64 exec, exec, s[36:37]
	s_cbranch_execnz .LBB41_33
.LBB41_34:                              ;   in Loop: Header=BB41_8 Depth=1
	s_or_b64 exec, exec, s[4:5]
	v_lshlrev_b64 v[6:7], 3, v[6:7]
	v_mov_b32_e32 v1, s13
	v_add_co_u32_e32 v6, vcc, s12, v6
	v_addc_co_u32_e32 v7, vcc, v1, v7, vcc
	s_waitcnt lgkmcnt(0)
	buffer_wbinvl1_vol
	global_load_dwordx2 v[6:7], v[6:7], off
	v_mov_b32_e32 v1, 0
	s_andn2_b64 s[34:35], s[34:35], exec
	s_waitcnt vmcnt(0)
	v_fma_f64 v[8:9], -v[4:5], v[6:7], v[2:3]
	s_or_b64 exec, exec, s[2:3]
	s_and_saveexec_b64 s[2:3], s[34:35]
	s_cbranch_execz .LBB41_38
.LBB41_35:                              ;   in Loop: Header=BB41_8 Depth=1
	s_and_b64 vcc, exec, s[0:1]
	s_cbranch_vccnz .LBB41_37
; %bb.36:                               ;   in Loop: Header=BB41_8 Depth=1
	v_div_scale_f64 v[6:7], s[4:5], v[4:5], v[4:5], 1.0
	v_rcp_f64_e32 v[8:9], v[6:7]
	v_div_scale_f64 v[16:17], vcc, 1.0, v[4:5], 1.0
	v_mov_b32_e32 v1, s8
	v_fma_f64 v[18:19], -v[6:7], v[8:9], 1.0
	v_fmac_f64_e32 v[8:9], v[8:9], v[18:19]
	v_fma_f64 v[18:19], -v[6:7], v[8:9], 1.0
	v_fmac_f64_e32 v[8:9], v[8:9], v[18:19]
	v_mul_f64 v[18:19], v[16:17], v[8:9]
	v_fma_f64 v[6:7], -v[6:7], v[18:19], v[16:17]
	v_div_fmas_f64 v[6:7], v[6:7], v[8:9], v[18:19]
	v_div_fixup_f64 v[4:5], v[6:7], v[4:5], 1.0
	ds_write_b64 v1, v[4:5]
.LBB41_37:                              ;   in Loop: Header=BB41_8 Depth=1
	v_mov_b32_e32 v1, 2
	v_pk_mov_b32 v[8:9], v[2:3], v[2:3] op_sel:[0,1]
.LBB41_38:                              ;   in Loop: Header=BB41_8 Depth=1
	s_or_b64 exec, exec, s[2:3]
	v_cmp_gt_i32_e32 vcc, 4, v1
	s_mov_b64 s[2:3], -1
	s_mov_b64 s[4:5], -1
	s_and_saveexec_b64 s[34:35], vcc
; %bb.39:                               ;   in Loop: Header=BB41_8 Depth=1
	v_cmp_eq_u32_e32 vcc, 0, v1
	s_orn2_b64 s[4:5], vcc, exec
; %bb.40:                               ;   in Loop: Header=BB41_8 Depth=1
	s_or_b64 exec, exec, s[34:35]
	s_and_saveexec_b64 s[34:35], s[4:5]
	s_cbranch_execz .LBB41_7
; %bb.41:                               ;   in Loop: Header=BB41_8 Depth=1
	v_add_u32_e32 v0, 64, v0
	v_cmp_le_i32_e32 vcc, s33, v0
	s_orn2_b64 s[2:3], vcc, exec
	s_branch .LBB41_7
.LBB41_42:
	s_or_b64 exec, exec, s[30:31]
	v_pk_mov_b32 v[2:3], v[8:9], v[8:9] op_sel:[0,1]
.LBB41_43:
	s_or_b64 exec, exec, s[22:23]
	s_nop 0
	v_mov_b32_dpp v0, v2 row_shr:1 row_mask:0xf bank_mask:0xf
	v_mov_b32_dpp v1, v3 row_shr:1 row_mask:0xf bank_mask:0xf
	v_add_f64 v[0:1], v[2:3], v[0:1]
	s_cmp_lg_u32 s10, 0
	s_nop 0
	v_mov_b32_dpp v2, v0 row_shr:2 row_mask:0xf bank_mask:0xf
	v_mov_b32_dpp v3, v1 row_shr:2 row_mask:0xf bank_mask:0xf
	v_add_f64 v[0:1], v[0:1], v[2:3]
	s_nop 1
	v_mov_b32_dpp v2, v0 row_shr:4 row_mask:0xf bank_mask:0xe
	v_mov_b32_dpp v3, v1 row_shr:4 row_mask:0xf bank_mask:0xe
	v_add_f64 v[0:1], v[0:1], v[2:3]
	s_nop 1
	v_mov_b32_dpp v2, v0 row_shr:8 row_mask:0xf bank_mask:0xc
	v_mov_b32_dpp v3, v1 row_shr:8 row_mask:0xf bank_mask:0xc
	v_add_f64 v[0:1], v[0:1], v[2:3]
	s_nop 1
	v_mov_b32_dpp v2, v0 row_bcast:15 row_mask:0xa bank_mask:0xf
	v_mov_b32_dpp v3, v1 row_bcast:15 row_mask:0xa bank_mask:0xf
	v_add_f64 v[0:1], v[0:1], v[2:3]
	s_nop 1
	v_mov_b32_dpp v2, v0 row_bcast:31 row_mask:0xc bank_mask:0xf
	v_mov_b32_dpp v3, v1 row_bcast:31 row_mask:0xc bank_mask:0xf
	v_add_f64 v[0:1], v[0:1], v[2:3]
	s_cbranch_scc0 .LBB41_47
; %bb.44:
	v_cmp_eq_u32_e32 vcc, 63, v10
	s_and_saveexec_b64 s[0:1], vcc
	s_cbranch_execz .LBB41_46
.LBB41_45:
	s_lshl_b64 s[0:1], s[20:21], 3
	s_add_u32 s0, s12, s0
	s_addc_u32 s1, s13, s1
	v_mov_b32_e32 v2, 0
	s_add_u32 s2, s14, s6
	s_addc_u32 s3, s15, s7
	global_store_dwordx2 v2, v[0:1], s[0:1] glc slc
	v_mov_b32_e32 v0, 1
	s_waitcnt vmcnt(0)
	global_store_dword v2, v0, s[2:3]
.LBB41_46:
	s_endpgm
.LBB41_47:
	s_lshl_b32 s0, s11, 3
	v_mov_b32_e32 v2, s0
	s_waitcnt lgkmcnt(0)
	ds_read_b64 v[2:3], v2
	s_waitcnt lgkmcnt(0)
	v_mul_f64 v[0:1], v[0:1], v[2:3]
	v_cmp_eq_u32_e32 vcc, 63, v10
	s_and_saveexec_b64 s[0:1], vcc
	s_cbranch_execnz .LBB41_45
	s_branch .LBB41_46
	.section	.rodata,"a",@progbits
	.p2align	6, 0x0
	.amdhsa_kernel _ZN9rocsparseL12csrsv_kernelILj1024ELj64ELb0EildEEvT3_NS_24const_host_device_scalarIT4_EEPKT2_PKS1_PKS3_SB_lPS3_PiS9_iPS1_21rocsparse_index_base_20rocsparse_fill_mode_20rocsparse_diag_type_b
		.amdhsa_group_segment_fixed_size 128
		.amdhsa_private_segment_fixed_size 0
		.amdhsa_kernarg_size 112
		.amdhsa_user_sgpr_count 6
		.amdhsa_user_sgpr_private_segment_buffer 1
		.amdhsa_user_sgpr_dispatch_ptr 0
		.amdhsa_user_sgpr_queue_ptr 0
		.amdhsa_user_sgpr_kernarg_segment_ptr 1
		.amdhsa_user_sgpr_dispatch_id 0
		.amdhsa_user_sgpr_flat_scratch_init 0
		.amdhsa_user_sgpr_kernarg_preload_length 0
		.amdhsa_user_sgpr_kernarg_preload_offset 0
		.amdhsa_user_sgpr_private_segment_size 0
		.amdhsa_uses_dynamic_stack 0
		.amdhsa_system_sgpr_private_segment_wavefront_offset 0
		.amdhsa_system_sgpr_workgroup_id_x 1
		.amdhsa_system_sgpr_workgroup_id_y 0
		.amdhsa_system_sgpr_workgroup_id_z 0
		.amdhsa_system_sgpr_workgroup_info 0
		.amdhsa_system_vgpr_workitem_id 0
		.amdhsa_next_free_vgpr 22
		.amdhsa_next_free_sgpr 41
		.amdhsa_accum_offset 24
		.amdhsa_reserve_vcc 1
		.amdhsa_reserve_flat_scratch 0
		.amdhsa_float_round_mode_32 0
		.amdhsa_float_round_mode_16_64 0
		.amdhsa_float_denorm_mode_32 3
		.amdhsa_float_denorm_mode_16_64 3
		.amdhsa_dx10_clamp 1
		.amdhsa_ieee_mode 1
		.amdhsa_fp16_overflow 0
		.amdhsa_tg_split 0
		.amdhsa_exception_fp_ieee_invalid_op 0
		.amdhsa_exception_fp_denorm_src 0
		.amdhsa_exception_fp_ieee_div_zero 0
		.amdhsa_exception_fp_ieee_overflow 0
		.amdhsa_exception_fp_ieee_underflow 0
		.amdhsa_exception_fp_ieee_inexact 0
		.amdhsa_exception_int_div_zero 0
	.end_amdhsa_kernel
	.section	.text._ZN9rocsparseL12csrsv_kernelILj1024ELj64ELb0EildEEvT3_NS_24const_host_device_scalarIT4_EEPKT2_PKS1_PKS3_SB_lPS3_PiS9_iPS1_21rocsparse_index_base_20rocsparse_fill_mode_20rocsparse_diag_type_b,"axG",@progbits,_ZN9rocsparseL12csrsv_kernelILj1024ELj64ELb0EildEEvT3_NS_24const_host_device_scalarIT4_EEPKT2_PKS1_PKS3_SB_lPS3_PiS9_iPS1_21rocsparse_index_base_20rocsparse_fill_mode_20rocsparse_diag_type_b,comdat
.Lfunc_end41:
	.size	_ZN9rocsparseL12csrsv_kernelILj1024ELj64ELb0EildEEvT3_NS_24const_host_device_scalarIT4_EEPKT2_PKS1_PKS3_SB_lPS3_PiS9_iPS1_21rocsparse_index_base_20rocsparse_fill_mode_20rocsparse_diag_type_b, .Lfunc_end41-_ZN9rocsparseL12csrsv_kernelILj1024ELj64ELb0EildEEvT3_NS_24const_host_device_scalarIT4_EEPKT2_PKS1_PKS3_SB_lPS3_PiS9_iPS1_21rocsparse_index_base_20rocsparse_fill_mode_20rocsparse_diag_type_b
                                        ; -- End function
	.section	.AMDGPU.csdata,"",@progbits
; Kernel info:
; codeLenInByte = 1512
; NumSgprs: 45
; NumVgprs: 22
; NumAgprs: 0
; TotalNumVgprs: 22
; ScratchSize: 0
; MemoryBound: 0
; FloatMode: 240
; IeeeMode: 1
; LDSByteSize: 128 bytes/workgroup (compile time only)
; SGPRBlocks: 5
; VGPRBlocks: 2
; NumSGPRsForWavesPerEU: 45
; NumVGPRsForWavesPerEU: 22
; AccumOffset: 24
; Occupancy: 8
; WaveLimiterHint : 1
; COMPUTE_PGM_RSRC2:SCRATCH_EN: 0
; COMPUTE_PGM_RSRC2:USER_SGPR: 6
; COMPUTE_PGM_RSRC2:TRAP_HANDLER: 0
; COMPUTE_PGM_RSRC2:TGID_X_EN: 1
; COMPUTE_PGM_RSRC2:TGID_Y_EN: 0
; COMPUTE_PGM_RSRC2:TGID_Z_EN: 0
; COMPUTE_PGM_RSRC2:TIDIG_COMP_CNT: 0
; COMPUTE_PGM_RSRC3_GFX90A:ACCUM_OFFSET: 5
; COMPUTE_PGM_RSRC3_GFX90A:TG_SPLIT: 0
	.section	.text._ZN9rocsparseL12csrsv_kernelILj1024ELj64ELb1Eil21rocsparse_complex_numIfEEEvT3_NS_24const_host_device_scalarIT4_EEPKT2_PKS3_PKS5_SD_lPS5_PiSB_iPS3_21rocsparse_index_base_20rocsparse_fill_mode_20rocsparse_diag_type_b,"axG",@progbits,_ZN9rocsparseL12csrsv_kernelILj1024ELj64ELb1Eil21rocsparse_complex_numIfEEEvT3_NS_24const_host_device_scalarIT4_EEPKT2_PKS3_PKS5_SD_lPS5_PiSB_iPS3_21rocsparse_index_base_20rocsparse_fill_mode_20rocsparse_diag_type_b,comdat
	.globl	_ZN9rocsparseL12csrsv_kernelILj1024ELj64ELb1Eil21rocsparse_complex_numIfEEEvT3_NS_24const_host_device_scalarIT4_EEPKT2_PKS3_PKS5_SD_lPS5_PiSB_iPS3_21rocsparse_index_base_20rocsparse_fill_mode_20rocsparse_diag_type_b ; -- Begin function _ZN9rocsparseL12csrsv_kernelILj1024ELj64ELb1Eil21rocsparse_complex_numIfEEEvT3_NS_24const_host_device_scalarIT4_EEPKT2_PKS3_PKS5_SD_lPS5_PiSB_iPS3_21rocsparse_index_base_20rocsparse_fill_mode_20rocsparse_diag_type_b
	.p2align	8
	.type	_ZN9rocsparseL12csrsv_kernelILj1024ELj64ELb1Eil21rocsparse_complex_numIfEEEvT3_NS_24const_host_device_scalarIT4_EEPKT2_PKS3_PKS5_SD_lPS5_PiSB_iPS3_21rocsparse_index_base_20rocsparse_fill_mode_20rocsparse_diag_type_b,@function
_ZN9rocsparseL12csrsv_kernelILj1024ELj64ELb1Eil21rocsparse_complex_numIfEEEvT3_NS_24const_host_device_scalarIT4_EEPKT2_PKS3_PKS5_SD_lPS5_PiSB_iPS3_21rocsparse_index_base_20rocsparse_fill_mode_20rocsparse_diag_type_b: ; @_ZN9rocsparseL12csrsv_kernelILj1024ELj64ELb1Eil21rocsparse_complex_numIfEEEvT3_NS_24const_host_device_scalarIT4_EEPKT2_PKS3_PKS5_SD_lPS5_PiSB_iPS3_21rocsparse_index_base_20rocsparse_fill_mode_20rocsparse_diag_type_b
; %bb.0:
	s_load_dwordx4 s[8:11], s[4:5], 0x60
	s_load_dwordx4 s[0:3], s[4:5], 0x0
	s_waitcnt lgkmcnt(0)
	s_bitcmp1_b32 s11, 0
	s_cselect_b64 s[14:15], -1, 0
	s_xor_b64 s[12:13], s[14:15], -1
	s_and_b64 vcc, exec, s[14:15]
	s_mov_b32 s16, s2
	s_cbranch_vccnz .LBB42_2
; %bb.1:
	s_load_dword s16, s[2:3], 0x0
.LBB42_2:
	s_andn2_b64 vcc, exec, s[12:13]
	s_cbranch_vccnz .LBB42_4
; %bb.3:
	s_load_dword s3, s[2:3], 0x4
.LBB42_4:
	v_lshrrev_b32_e32 v1, 6, v0
	v_mov_b32_e32 v2, s0
	v_readfirstlane_b32 s11, v1
	s_lshl_b32 s0, s6, 4
	v_mov_b32_e32 v3, s1
	s_add_i32 s18, s11, s0
	s_mov_b32 s19, 0
	v_cmp_ge_i64_e32 vcc, s[18:19], v[2:3]
	s_cbranch_vccnz .LBB42_50
; %bb.5:
	s_load_dword s0, s[4:5], 0x50
	s_load_dwordx2 s[6:7], s[4:5], 0x48
	s_lshl_b64 s[12:13], s[18:19], 3
	v_and_b32_e32 v10, 63, v0
	s_mov_b32 s18, s19
	s_waitcnt lgkmcnt(0)
	s_ashr_i32 s1, s0, 31
	s_add_u32 s2, s6, s12
	s_addc_u32 s6, s7, s13
	s_lshl_b64 s[0:1], s[0:1], 3
	s_add_u32 s0, s2, s0
	s_addc_u32 s1, s6, s1
	s_load_dwordx2 s[20:21], s[0:1], 0x0
	s_load_dwordx2 s[22:23], s[4:5], 0x10
	s_load_dwordx4 s[12:15], s[4:5], 0x38
	v_cmp_eq_u32_e32 vcc, 0, v10
	v_pk_mov_b32 v[2:3], s[18:19], s[18:19] op_sel:[0,1]
	s_waitcnt lgkmcnt(0)
	s_lshl_b64 s[6:7], s[20:21], 2
	s_add_u32 s0, s22, s6
	s_addc_u32 s1, s23, s7
	s_load_dwordx2 s[0:1], s[0:1], 0x0
	s_and_saveexec_b64 s[18:19], vcc
	s_cbranch_execz .LBB42_7
; %bb.6:
	s_load_dwordx4 s[24:27], s[4:5], 0x28
	v_mov_b32_e32 v1, s16
	s_waitcnt lgkmcnt(0)
	s_mul_i32 s2, s20, s27
	s_mul_hi_u32 s17, s20, s26
	s_mul_i32 s23, s21, s26
	s_add_i32 s2, s17, s2
	s_mul_i32 s22, s20, s26
	s_add_i32 s23, s2, s23
	s_lshl_b64 s[22:23], s[22:23], 3
	s_add_u32 s22, s24, s22
	s_addc_u32 s23, s25, s23
	s_load_dwordx2 s[22:23], s[22:23], 0x0
	s_xor_b32 s2, s3, 0x80000000
	v_mov_b32_e32 v0, s2
	s_mov_b32 s17, s3
	s_waitcnt lgkmcnt(0)
	v_pk_mul_f32 v[0:1], s[22:23], v[0:1] op_sel:[1,0]
	v_pk_mov_b32 v[2:3], s[22:23], s[22:23] op_sel:[0,1]
	v_pk_fma_f32 v[2:3], s[16:17], v[2:3], v[0:1] op_sel_hi:[1,0,1]
.LBB42_7:
	s_or_b64 exec, exec, s[18:19]
	v_subrev_u32_e32 v0, s8, v10
	s_waitcnt lgkmcnt(0)
	s_sub_i32 s33, s1, s8
	v_add_u32_e32 v0, s0, v0
	v_cmp_gt_i32_e32 vcc, s33, v0
	s_and_saveexec_b64 s[22:23], vcc
	s_cbranch_execz .LBB42_47
; %bb.8:
	s_load_dwordx2 s[24:25], s[4:5], 0x58
	s_load_dwordx4 s[16:19], s[4:5], 0x18
	s_cmp_eq_u32 s10, 0
	s_cselect_b64 s[26:27], -1, 0
	s_mov_b32 s0, 0
	s_add_u32 s28, s20, s8
	v_cndmask_b32_e64 v1, 0, 1, s[26:27]
	s_mov_b32 s40, s8
	s_addc_u32 s29, s21, 0
	s_lshl_b32 s8, s11, 3
	s_mov_b64 s[30:31], 0
	s_waitcnt lgkmcnt(0)
	v_mov_b32_e32 v11, s17
	v_mov_b32_e32 v12, s0
	;; [unrolled: 1-line block ×4, first 2 shown]
	v_cmp_ne_u32_e64 s[0:1], 1, v1
	s_branch .LBB42_10
.LBB42_9:                               ;   in Loop: Header=BB42_10 Depth=1
	s_or_b64 exec, exec, s[34:35]
	s_and_b64 s[2:3], exec, s[2:3]
	s_or_b64 s[30:31], s[2:3], s[30:31]
	v_pk_mov_b32 v[2:3], v[8:9], v[8:9] op_sel:[0,1]
	s_andn2_b64 exec, exec, s[30:31]
	s_cbranch_execz .LBB42_46
.LBB42_10:                              ; =>This Loop Header: Depth=1
                                        ;     Child Loop BB42_36 Depth 2
                                        ;       Child Loop BB42_37 Depth 3
	v_ashrrev_i32_e32 v1, 31, v0
	v_lshlrev_b64 v[4:5], 3, v[0:1]
	v_add_co_u32_e32 v6, vcc, s16, v4
	v_addc_co_u32_e32 v7, vcc, v11, v5, vcc
	global_load_dwordx2 v[6:7], v[6:7], off glc slc
	v_add_co_u32_e32 v4, vcc, s18, v4
	v_addc_co_u32_e32 v5, vcc, v13, v5, vcc
	global_load_dwordx2 v[4:5], v[4:5], off glc slc
	s_waitcnt vmcnt(1)
	v_subrev_co_u32_e32 v6, vcc, s40, v6
	v_subb_co_u32_e32 v7, vcc, v7, v12, vcc
	s_waitcnt vmcnt(0)
	v_cmp_eq_f32_e32 vcc, 0, v4
	v_cmp_eq_f32_e64 s[2:3], 0, v5
	s_and_b64 s[2:3], vcc, s[2:3]
	v_cmp_eq_u64_e32 vcc, s[20:21], v[6:7]
	s_and_b64 s[2:3], s[2:3], vcc
	s_and_b64 s[2:3], s[26:27], s[2:3]
	s_and_saveexec_b64 s[4:5], s[2:3]
	s_cbranch_execz .LBB42_14
; %bb.11:                               ;   in Loop: Header=BB42_10 Depth=1
	v_mbcnt_lo_u32_b32 v1, exec_lo, 0
	v_mbcnt_hi_u32_b32 v1, exec_hi, v1
	v_cmp_eq_u32_e64 s[2:3], 0, v1
	s_and_saveexec_b64 s[34:35], s[2:3]
	s_cbranch_execz .LBB42_13
; %bb.12:                               ;   in Loop: Header=BB42_10 Depth=1
	v_pk_mov_b32 v[4:5], s[28:29], s[28:29] op_sel:[0,1]
	global_atomic_umin_x2 v14, v[4:5], s[24:25]
.LBB42_13:                              ;   in Loop: Header=BB42_10 Depth=1
	s_or_b64 exec, exec, s[34:35]
	v_mov_b32_e32 v4, 1.0
	v_mov_b32_e32 v5, 0
.LBB42_14:                              ;   in Loop: Header=BB42_10 Depth=1
	s_or_b64 exec, exec, s[4:5]
	v_cmp_ne_u64_e64 s[2:3], s[20:21], v[6:7]
	s_cmp_lt_i32 s9, 1
	s_mov_b64 s[34:35], 0
	s_cbranch_scc1 .LBB42_23
; %bb.15:                               ;   in Loop: Header=BB42_10 Depth=1
	s_cmp_eq_u32 s9, 1
	s_cbranch_scc0 .LBB42_24
; %bb.16:                               ;   in Loop: Header=BB42_10 Depth=1
	v_cmp_le_i64_e64 s[4:5], s[20:21], v[6:7]
	s_mov_b64 s[36:37], 0
	s_and_saveexec_b64 s[38:39], s[4:5]
	s_cbranch_execz .LBB42_22
; %bb.17:                               ;   in Loop: Header=BB42_10 Depth=1
	s_mov_b64 s[36:37], -1
	s_and_saveexec_b64 s[4:5], vcc
	s_xor_b64 s[4:5], exec, s[4:5]
	s_cbranch_execz .LBB42_21
; %bb.18:                               ;   in Loop: Header=BB42_10 Depth=1
	s_and_b64 vcc, exec, s[0:1]
	s_cbranch_vccnz .LBB42_20
; %bb.19:                               ;   in Loop: Header=BB42_10 Depth=1
	v_mul_f32_e32 v1, v5, v5
	v_fmac_f32_e32 v1, v4, v4
	v_div_scale_f32 v8, s[36:37], v1, v1, 1.0
	v_rcp_f32_e32 v9, v8
	v_div_scale_f32 v15, vcc, 1.0, v1, 1.0
	v_fma_f32 v16, -v8, v9, 1.0
	v_fmac_f32_e32 v9, v16, v9
	v_mul_f32_e32 v16, v15, v9
	v_fma_f32 v17, -v8, v16, v15
	v_fmac_f32_e32 v16, v17, v9
	v_fma_f32 v8, -v8, v16, v15
	v_div_fmas_f32 v8, v8, v9, v16
	v_div_fixup_f32 v8, v8, v1, 1.0
	v_fma_f32 v16, 0, v5, v4
	v_fma_f32 v17, v4, 0, -v5
	v_pk_mul_f32 v[8:9], v[16:17], v[8:9] op_sel_hi:[1,0]
	v_mov_b32_e32 v1, s8
	ds_write_b64 v1, v[8:9]
.LBB42_20:                              ;   in Loop: Header=BB42_10 Depth=1
	s_xor_b64 s[36:37], exec, -1
.LBB42_21:                              ;   in Loop: Header=BB42_10 Depth=1
	s_or_b64 exec, exec, s[4:5]
	s_and_b64 s[36:37], s[36:37], exec
.LBB42_22:                              ;   in Loop: Header=BB42_10 Depth=1
	s_or_b64 exec, exec, s[38:39]
	s_mov_b32 s17, 4
	v_pk_mov_b32 v[8:9], v[2:3], v[2:3] op_sel:[0,1]
	s_branch .LBB42_25
.LBB42_23:                              ;   in Loop: Header=BB42_10 Depth=1
	s_mov_b64 s[36:37], 0
                                        ; implicit-def: $vgpr8_vgpr9
                                        ; implicit-def: $sgpr17
	s_cbranch_execnz .LBB42_26
	s_branch .LBB42_28
.LBB42_24:                              ;   in Loop: Header=BB42_10 Depth=1
	s_mov_b64 s[36:37], -1
                                        ; implicit-def: $vgpr8_vgpr9
                                        ; implicit-def: $sgpr17
.LBB42_25:                              ;   in Loop: Header=BB42_10 Depth=1
	s_branch .LBB42_28
.LBB42_26:                              ;   in Loop: Header=BB42_10 Depth=1
	s_cmp_eq_u32 s9, 0
	s_cbranch_scc1 .LBB42_30
; %bb.27:                               ;   in Loop: Header=BB42_10 Depth=1
	s_mov_b64 s[36:37], -1
                                        ; implicit-def: $vgpr8_vgpr9
                                        ; implicit-def: $sgpr17
.LBB42_28:                              ;   in Loop: Header=BB42_10 Depth=1
	v_mov_b32_e32 v1, s17
	s_and_saveexec_b64 s[2:3], s[36:37]
	s_cbranch_execnz .LBB42_33
.LBB42_29:                              ;   in Loop: Header=BB42_10 Depth=1
	s_or_b64 exec, exec, s[2:3]
	s_and_saveexec_b64 s[2:3], s[34:35]
	s_cbranch_execnz .LBB42_39
	s_branch .LBB42_42
.LBB42_30:                              ;   in Loop: Header=BB42_10 Depth=1
	v_cmp_ge_i64_e32 vcc, s[20:21], v[6:7]
	s_mov_b64 s[36:37], 0
	s_and_saveexec_b64 s[4:5], vcc
; %bb.31:                               ;   in Loop: Header=BB42_10 Depth=1
	s_mov_b64 s[34:35], exec
	s_and_b64 s[36:37], s[2:3], exec
; %bb.32:                               ;   in Loop: Header=BB42_10 Depth=1
	s_or_b64 exec, exec, s[4:5]
	s_mov_b32 s17, 2
	v_pk_mov_b32 v[8:9], v[2:3], v[2:3] op_sel:[0,1]
	v_mov_b32_e32 v1, s17
	s_and_saveexec_b64 s[2:3], s[36:37]
	s_cbranch_execz .LBB42_29
.LBB42_33:                              ;   in Loop: Header=BB42_10 Depth=1
	v_lshlrev_b64 v[8:9], 2, v[6:7]
	v_mov_b32_e32 v1, s15
	v_add_co_u32_e32 v8, vcc, s14, v8
	v_addc_co_u32_e32 v9, vcc, v1, v9, vcc
	global_load_dword v1, v[8:9], off glc
	s_waitcnt vmcnt(0)
	v_cmp_eq_u32_e32 vcc, 0, v1
	s_and_saveexec_b64 s[4:5], vcc
	s_cbranch_execz .LBB42_38
; %bb.34:                               ;   in Loop: Header=BB42_10 Depth=1
	s_mov_b32 s17, 0
	s_mov_b64 s[36:37], 0
	s_branch .LBB42_36
.LBB42_35:                              ;   in Loop: Header=BB42_36 Depth=2
	global_load_dword v1, v[8:9], off glc
	s_cmpk_lt_u32 s17, 0xf43
	s_cselect_b64 s[38:39], -1, 0
	s_cmp_lg_u64 s[38:39], 0
	s_addc_u32 s17, s17, 0
	s_waitcnt vmcnt(0)
	v_cmp_ne_u32_e32 vcc, 0, v1
	s_or_b64 s[36:37], vcc, s[36:37]
	s_andn2_b64 exec, exec, s[36:37]
	s_cbranch_execz .LBB42_38
.LBB42_36:                              ;   Parent Loop BB42_10 Depth=1
                                        ; =>  This Loop Header: Depth=2
                                        ;       Child Loop BB42_37 Depth 3
	s_cmp_eq_u32 s17, 0
	s_mov_b32 s19, s17
	s_cbranch_scc1 .LBB42_35
.LBB42_37:                              ;   Parent Loop BB42_10 Depth=1
                                        ;     Parent Loop BB42_36 Depth=2
                                        ; =>    This Inner Loop Header: Depth=3
	s_add_i32 s19, s19, -1
	s_cmp_eq_u32 s19, 0
	s_sleep 1
	s_cbranch_scc0 .LBB42_37
	s_branch .LBB42_35
.LBB42_38:                              ;   in Loop: Header=BB42_10 Depth=1
	s_or_b64 exec, exec, s[4:5]
	v_lshlrev_b64 v[6:7], 3, v[6:7]
	v_mov_b32_e32 v1, s13
	v_add_co_u32_e32 v6, vcc, s12, v6
	v_addc_co_u32_e32 v7, vcc, v1, v7, vcc
	s_waitcnt lgkmcnt(0)
	buffer_wbinvl1_vol
	global_load_dwordx2 v[6:7], v[6:7], off
	v_mov_b32_e32 v1, 0
	s_andn2_b64 s[34:35], s[34:35], exec
	s_waitcnt vmcnt(0)
	v_pk_fma_f32 v[8:9], v[4:5], v[6:7], v[2:3] op_sel_hi:[1,0,1] neg_lo:[1,0,0] neg_hi:[1,0,0]
	v_pk_fma_f32 v[8:9], v[4:5], v[6:7], v[8:9] op_sel:[1,1,0] op_sel_hi:[0,1,1] neg_hi:[1,0,0]
	s_or_b64 exec, exec, s[2:3]
	s_and_saveexec_b64 s[2:3], s[34:35]
	s_cbranch_execz .LBB42_42
.LBB42_39:                              ;   in Loop: Header=BB42_10 Depth=1
	s_and_b64 vcc, exec, s[0:1]
	s_cbranch_vccnz .LBB42_41
; %bb.40:                               ;   in Loop: Header=BB42_10 Depth=1
	v_mul_f32_e32 v1, v5, v5
	v_fmac_f32_e32 v1, v4, v4
	v_div_scale_f32 v6, s[4:5], v1, v1, 1.0
	v_rcp_f32_e32 v7, v6
	v_div_scale_f32 v8, vcc, 1.0, v1, 1.0
	v_fma_f32 v9, -v6, v7, 1.0
	v_fmac_f32_e32 v7, v9, v7
	v_mul_f32_e32 v9, v8, v7
	v_fma_f32 v15, -v6, v9, v8
	v_fmac_f32_e32 v9, v15, v7
	v_fma_f32 v6, -v6, v9, v8
	v_div_fmas_f32 v6, v6, v7, v9
	v_div_fixup_f32 v6, v6, v1, 1.0
	v_fma_f32 v8, 0, v5, v4
	v_fma_f32 v9, v4, 0, -v5
	v_pk_mul_f32 v[4:5], v[8:9], v[6:7] op_sel_hi:[1,0]
	v_mov_b32_e32 v1, s8
	ds_write_b64 v1, v[4:5]
.LBB42_41:                              ;   in Loop: Header=BB42_10 Depth=1
	v_mov_b32_e32 v1, 2
	v_pk_mov_b32 v[8:9], v[2:3], v[2:3] op_sel:[0,1]
.LBB42_42:                              ;   in Loop: Header=BB42_10 Depth=1
	s_or_b64 exec, exec, s[2:3]
	v_cmp_gt_i32_e32 vcc, 4, v1
	s_mov_b64 s[2:3], -1
	s_mov_b64 s[4:5], -1
	s_and_saveexec_b64 s[34:35], vcc
; %bb.43:                               ;   in Loop: Header=BB42_10 Depth=1
	v_cmp_eq_u32_e32 vcc, 0, v1
	s_orn2_b64 s[4:5], vcc, exec
; %bb.44:                               ;   in Loop: Header=BB42_10 Depth=1
	s_or_b64 exec, exec, s[34:35]
	s_and_saveexec_b64 s[34:35], s[4:5]
	s_cbranch_execz .LBB42_9
; %bb.45:                               ;   in Loop: Header=BB42_10 Depth=1
	v_add_u32_e32 v0, 64, v0
	v_cmp_le_i32_e32 vcc, s33, v0
	s_orn2_b64 s[2:3], vcc, exec
	s_branch .LBB42_9
.LBB42_46:
	s_or_b64 exec, exec, s[30:31]
	v_pk_mov_b32 v[2:3], v[8:9], v[8:9] op_sel:[0,1]
.LBB42_47:
	s_or_b64 exec, exec, s[22:23]
	s_nop 0
	v_mov_b32_dpp v0, v2 row_shr:1 row_mask:0xf bank_mask:0xf
	v_mov_b32_dpp v1, v3 row_shr:1 row_mask:0xf bank_mask:0xf
	v_pk_add_f32 v[0:1], v[2:3], v[0:1]
	s_cmp_lg_u32 s10, 0
	s_nop 0
	v_mov_b32_dpp v2, v0 row_shr:2 row_mask:0xf bank_mask:0xf
	v_mov_b32_dpp v3, v1 row_shr:2 row_mask:0xf bank_mask:0xf
	v_pk_add_f32 v[0:1], v[0:1], v[2:3]
	s_nop 1
	v_mov_b32_dpp v2, v0 row_shr:4 row_mask:0xf bank_mask:0xe
	v_mov_b32_dpp v3, v1 row_shr:4 row_mask:0xf bank_mask:0xe
	v_pk_add_f32 v[0:1], v[0:1], v[2:3]
	;; [unrolled: 4-line block ×3, first 2 shown]
	s_nop 1
	v_mov_b32_dpp v2, v0 row_bcast:15 row_mask:0xa bank_mask:0xf
	v_mov_b32_dpp v3, v1 row_bcast:15 row_mask:0xa bank_mask:0xf
	v_pk_add_f32 v[0:1], v[0:1], v[2:3]
	s_nop 1
	v_mov_b32_dpp v2, v0 row_bcast:31 row_mask:0xc bank_mask:0xf
	v_mov_b32_dpp v3, v1 row_bcast:31 row_mask:0xc bank_mask:0xf
	v_pk_add_f32 v[0:1], v[0:1], v[2:3]
	s_cbranch_scc0 .LBB42_51
; %bb.48:
	v_cmp_eq_u32_e32 vcc, 63, v10
	s_and_saveexec_b64 s[0:1], vcc
	s_cbranch_execz .LBB42_50
.LBB42_49:
	s_lshl_b64 s[0:1], s[20:21], 3
	s_add_u32 s0, s12, s0
	s_addc_u32 s1, s13, s1
	v_mov_b32_e32 v2, 0
	s_add_u32 s2, s14, s6
	s_addc_u32 s3, s15, s7
	global_store_dwordx2 v2, v[0:1], s[0:1] glc slc
	v_mov_b32_e32 v0, 1
	s_waitcnt vmcnt(0)
	global_store_dword v2, v0, s[2:3]
.LBB42_50:
	s_endpgm
.LBB42_51:
	s_lshl_b32 s0, s11, 3
	v_mov_b32_e32 v2, s0
	s_waitcnt lgkmcnt(0)
	ds_read_b64 v[2:3], v2
	s_waitcnt lgkmcnt(0)
	v_pk_mul_f32 v[4:5], v[2:3], v[0:1] op_sel:[1,1] op_sel_hi:[1,0] neg_lo:[0,1]
	v_pk_fma_f32 v[0:1], v[0:1], v[2:3], v[4:5] op_sel_hi:[1,0,1]
	v_cmp_eq_u32_e32 vcc, 63, v10
	s_and_saveexec_b64 s[0:1], vcc
	s_cbranch_execnz .LBB42_49
	s_branch .LBB42_50
	.section	.rodata,"a",@progbits
	.p2align	6, 0x0
	.amdhsa_kernel _ZN9rocsparseL12csrsv_kernelILj1024ELj64ELb1Eil21rocsparse_complex_numIfEEEvT3_NS_24const_host_device_scalarIT4_EEPKT2_PKS3_PKS5_SD_lPS5_PiSB_iPS3_21rocsparse_index_base_20rocsparse_fill_mode_20rocsparse_diag_type_b
		.amdhsa_group_segment_fixed_size 128
		.amdhsa_private_segment_fixed_size 0
		.amdhsa_kernarg_size 112
		.amdhsa_user_sgpr_count 6
		.amdhsa_user_sgpr_private_segment_buffer 1
		.amdhsa_user_sgpr_dispatch_ptr 0
		.amdhsa_user_sgpr_queue_ptr 0
		.amdhsa_user_sgpr_kernarg_segment_ptr 1
		.amdhsa_user_sgpr_dispatch_id 0
		.amdhsa_user_sgpr_flat_scratch_init 0
		.amdhsa_user_sgpr_kernarg_preload_length 0
		.amdhsa_user_sgpr_kernarg_preload_offset 0
		.amdhsa_user_sgpr_private_segment_size 0
		.amdhsa_uses_dynamic_stack 0
		.amdhsa_system_sgpr_private_segment_wavefront_offset 0
		.amdhsa_system_sgpr_workgroup_id_x 1
		.amdhsa_system_sgpr_workgroup_id_y 0
		.amdhsa_system_sgpr_workgroup_id_z 0
		.amdhsa_system_sgpr_workgroup_info 0
		.amdhsa_system_vgpr_workitem_id 0
		.amdhsa_next_free_vgpr 18
		.amdhsa_next_free_sgpr 41
		.amdhsa_accum_offset 20
		.amdhsa_reserve_vcc 1
		.amdhsa_reserve_flat_scratch 0
		.amdhsa_float_round_mode_32 0
		.amdhsa_float_round_mode_16_64 0
		.amdhsa_float_denorm_mode_32 3
		.amdhsa_float_denorm_mode_16_64 3
		.amdhsa_dx10_clamp 1
		.amdhsa_ieee_mode 1
		.amdhsa_fp16_overflow 0
		.amdhsa_tg_split 0
		.amdhsa_exception_fp_ieee_invalid_op 0
		.amdhsa_exception_fp_denorm_src 0
		.amdhsa_exception_fp_ieee_div_zero 0
		.amdhsa_exception_fp_ieee_overflow 0
		.amdhsa_exception_fp_ieee_underflow 0
		.amdhsa_exception_fp_ieee_inexact 0
		.amdhsa_exception_int_div_zero 0
	.end_amdhsa_kernel
	.section	.text._ZN9rocsparseL12csrsv_kernelILj1024ELj64ELb1Eil21rocsparse_complex_numIfEEEvT3_NS_24const_host_device_scalarIT4_EEPKT2_PKS3_PKS5_SD_lPS5_PiSB_iPS3_21rocsparse_index_base_20rocsparse_fill_mode_20rocsparse_diag_type_b,"axG",@progbits,_ZN9rocsparseL12csrsv_kernelILj1024ELj64ELb1Eil21rocsparse_complex_numIfEEEvT3_NS_24const_host_device_scalarIT4_EEPKT2_PKS3_PKS5_SD_lPS5_PiSB_iPS3_21rocsparse_index_base_20rocsparse_fill_mode_20rocsparse_diag_type_b,comdat
.Lfunc_end42:
	.size	_ZN9rocsparseL12csrsv_kernelILj1024ELj64ELb1Eil21rocsparse_complex_numIfEEEvT3_NS_24const_host_device_scalarIT4_EEPKT2_PKS3_PKS5_SD_lPS5_PiSB_iPS3_21rocsparse_index_base_20rocsparse_fill_mode_20rocsparse_diag_type_b, .Lfunc_end42-_ZN9rocsparseL12csrsv_kernelILj1024ELj64ELb1Eil21rocsparse_complex_numIfEEEvT3_NS_24const_host_device_scalarIT4_EEPKT2_PKS3_PKS5_SD_lPS5_PiSB_iPS3_21rocsparse_index_base_20rocsparse_fill_mode_20rocsparse_diag_type_b
                                        ; -- End function
	.section	.AMDGPU.csdata,"",@progbits
; Kernel info:
; codeLenInByte = 1688
; NumSgprs: 45
; NumVgprs: 18
; NumAgprs: 0
; TotalNumVgprs: 18
; ScratchSize: 0
; MemoryBound: 0
; FloatMode: 240
; IeeeMode: 1
; LDSByteSize: 128 bytes/workgroup (compile time only)
; SGPRBlocks: 5
; VGPRBlocks: 2
; NumSGPRsForWavesPerEU: 45
; NumVGPRsForWavesPerEU: 18
; AccumOffset: 20
; Occupancy: 8
; WaveLimiterHint : 1
; COMPUTE_PGM_RSRC2:SCRATCH_EN: 0
; COMPUTE_PGM_RSRC2:USER_SGPR: 6
; COMPUTE_PGM_RSRC2:TRAP_HANDLER: 0
; COMPUTE_PGM_RSRC2:TGID_X_EN: 1
; COMPUTE_PGM_RSRC2:TGID_Y_EN: 0
; COMPUTE_PGM_RSRC2:TGID_Z_EN: 0
; COMPUTE_PGM_RSRC2:TIDIG_COMP_CNT: 0
; COMPUTE_PGM_RSRC3_GFX90A:ACCUM_OFFSET: 4
; COMPUTE_PGM_RSRC3_GFX90A:TG_SPLIT: 0
	.section	.text._ZN9rocsparseL12csrsv_kernelILj1024ELj32ELb0Eil21rocsparse_complex_numIfEEEvT3_NS_24const_host_device_scalarIT4_EEPKT2_PKS3_PKS5_SD_lPS5_PiSB_iPS3_21rocsparse_index_base_20rocsparse_fill_mode_20rocsparse_diag_type_b,"axG",@progbits,_ZN9rocsparseL12csrsv_kernelILj1024ELj32ELb0Eil21rocsparse_complex_numIfEEEvT3_NS_24const_host_device_scalarIT4_EEPKT2_PKS3_PKS5_SD_lPS5_PiSB_iPS3_21rocsparse_index_base_20rocsparse_fill_mode_20rocsparse_diag_type_b,comdat
	.globl	_ZN9rocsparseL12csrsv_kernelILj1024ELj32ELb0Eil21rocsparse_complex_numIfEEEvT3_NS_24const_host_device_scalarIT4_EEPKT2_PKS3_PKS5_SD_lPS5_PiSB_iPS3_21rocsparse_index_base_20rocsparse_fill_mode_20rocsparse_diag_type_b ; -- Begin function _ZN9rocsparseL12csrsv_kernelILj1024ELj32ELb0Eil21rocsparse_complex_numIfEEEvT3_NS_24const_host_device_scalarIT4_EEPKT2_PKS3_PKS5_SD_lPS5_PiSB_iPS3_21rocsparse_index_base_20rocsparse_fill_mode_20rocsparse_diag_type_b
	.p2align	8
	.type	_ZN9rocsparseL12csrsv_kernelILj1024ELj32ELb0Eil21rocsparse_complex_numIfEEEvT3_NS_24const_host_device_scalarIT4_EEPKT2_PKS3_PKS5_SD_lPS5_PiSB_iPS3_21rocsparse_index_base_20rocsparse_fill_mode_20rocsparse_diag_type_b,@function
_ZN9rocsparseL12csrsv_kernelILj1024ELj32ELb0Eil21rocsparse_complex_numIfEEEvT3_NS_24const_host_device_scalarIT4_EEPKT2_PKS3_PKS5_SD_lPS5_PiSB_iPS3_21rocsparse_index_base_20rocsparse_fill_mode_20rocsparse_diag_type_b: ; @_ZN9rocsparseL12csrsv_kernelILj1024ELj32ELb0Eil21rocsparse_complex_numIfEEEvT3_NS_24const_host_device_scalarIT4_EEPKT2_PKS3_PKS5_SD_lPS5_PiSB_iPS3_21rocsparse_index_base_20rocsparse_fill_mode_20rocsparse_diag_type_b
; %bb.0:
	s_load_dwordx4 s[8:11], s[4:5], 0x60
	s_load_dwordx4 s[0:3], s[4:5], 0x0
	s_waitcnt lgkmcnt(0)
	s_bitcmp1_b32 s11, 0
	s_cselect_b64 s[14:15], -1, 0
	s_xor_b64 s[12:13], s[14:15], -1
	s_and_b64 vcc, exec, s[14:15]
	s_mov_b32 s16, s2
	s_cbranch_vccnz .LBB43_2
; %bb.1:
	s_load_dword s16, s[2:3], 0x0
.LBB43_2:
	s_andn2_b64 vcc, exec, s[12:13]
	s_cbranch_vccnz .LBB43_4
; %bb.3:
	s_load_dword s3, s[2:3], 0x4
.LBB43_4:
	v_lshrrev_b32_e32 v1, 5, v0
	v_mov_b32_e32 v2, s0
	v_readfirstlane_b32 s11, v1
	s_lshl_b32 s0, s6, 5
	v_mov_b32_e32 v3, s1
	s_add_i32 s18, s11, s0
	s_mov_b32 s19, 0
	v_cmp_ge_i64_e32 vcc, s[18:19], v[2:3]
	s_cbranch_vccnz .LBB43_48
; %bb.5:
	s_load_dword s0, s[4:5], 0x50
	s_load_dwordx2 s[6:7], s[4:5], 0x48
	s_lshl_b64 s[12:13], s[18:19], 3
	v_and_b32_e32 v10, 31, v0
	s_mov_b32 s18, s19
	s_waitcnt lgkmcnt(0)
	s_ashr_i32 s1, s0, 31
	s_add_u32 s2, s6, s12
	s_addc_u32 s6, s7, s13
	s_lshl_b64 s[0:1], s[0:1], 3
	s_add_u32 s0, s2, s0
	s_addc_u32 s1, s6, s1
	s_load_dwordx2 s[20:21], s[0:1], 0x0
	s_load_dwordx2 s[22:23], s[4:5], 0x10
	s_load_dwordx4 s[12:15], s[4:5], 0x38
	v_cmp_eq_u32_e32 vcc, 0, v10
	v_pk_mov_b32 v[2:3], s[18:19], s[18:19] op_sel:[0,1]
	s_waitcnt lgkmcnt(0)
	s_lshl_b64 s[6:7], s[20:21], 2
	s_add_u32 s0, s22, s6
	s_addc_u32 s1, s23, s7
	s_load_dwordx2 s[0:1], s[0:1], 0x0
	s_and_saveexec_b64 s[18:19], vcc
	s_cbranch_execz .LBB43_7
; %bb.6:
	s_load_dwordx4 s[24:27], s[4:5], 0x28
	v_mov_b32_e32 v1, s16
	s_waitcnt lgkmcnt(0)
	s_mul_i32 s2, s20, s27
	s_mul_hi_u32 s17, s20, s26
	s_mul_i32 s23, s21, s26
	s_add_i32 s2, s17, s2
	s_mul_i32 s22, s20, s26
	s_add_i32 s23, s2, s23
	s_lshl_b64 s[22:23], s[22:23], 3
	s_add_u32 s22, s24, s22
	s_addc_u32 s23, s25, s23
	s_load_dwordx2 s[22:23], s[22:23], 0x0
	s_xor_b32 s2, s3, 0x80000000
	v_mov_b32_e32 v0, s2
	s_mov_b32 s17, s3
	s_waitcnt lgkmcnt(0)
	v_pk_mul_f32 v[0:1], s[22:23], v[0:1] op_sel:[1,0]
	v_pk_mov_b32 v[2:3], s[22:23], s[22:23] op_sel:[0,1]
	v_pk_fma_f32 v[2:3], s[16:17], v[2:3], v[0:1] op_sel_hi:[1,0,1]
.LBB43_7:
	s_or_b64 exec, exec, s[18:19]
	v_subrev_u32_e32 v0, s8, v10
	s_waitcnt lgkmcnt(0)
	s_sub_i32 s33, s1, s8
	v_add_u32_e32 v0, s0, v0
	v_cmp_gt_i32_e32 vcc, s33, v0
	s_and_saveexec_b64 s[22:23], vcc
	s_cbranch_execz .LBB43_45
; %bb.8:
	s_load_dwordx2 s[24:25], s[4:5], 0x58
	s_load_dwordx4 s[16:19], s[4:5], 0x18
	s_cmp_eq_u32 s10, 0
	s_cselect_b64 s[26:27], -1, 0
	s_mov_b32 s0, 0
	s_add_u32 s28, s20, s8
	v_cndmask_b32_e64 v1, 0, 1, s[26:27]
	s_mov_b32 s40, s8
	s_addc_u32 s29, s21, 0
	s_lshl_b32 s8, s11, 3
	s_mov_b64 s[30:31], 0
	s_waitcnt lgkmcnt(0)
	v_mov_b32_e32 v11, s17
	v_mov_b32_e32 v12, s0
	;; [unrolled: 1-line block ×4, first 2 shown]
	v_cmp_ne_u32_e64 s[0:1], 1, v1
	s_branch .LBB43_10
.LBB43_9:                               ;   in Loop: Header=BB43_10 Depth=1
	s_or_b64 exec, exec, s[34:35]
	s_and_b64 s[2:3], exec, s[2:3]
	s_or_b64 s[30:31], s[2:3], s[30:31]
	v_pk_mov_b32 v[2:3], v[8:9], v[8:9] op_sel:[0,1]
	s_andn2_b64 exec, exec, s[30:31]
	s_cbranch_execz .LBB43_44
.LBB43_10:                              ; =>This Loop Header: Depth=1
                                        ;     Child Loop BB43_35 Depth 2
	v_ashrrev_i32_e32 v1, 31, v0
	v_lshlrev_b64 v[4:5], 3, v[0:1]
	v_add_co_u32_e32 v6, vcc, s16, v4
	v_addc_co_u32_e32 v7, vcc, v11, v5, vcc
	global_load_dwordx2 v[6:7], v[6:7], off glc slc
	v_add_co_u32_e32 v4, vcc, s18, v4
	v_addc_co_u32_e32 v5, vcc, v13, v5, vcc
	global_load_dwordx2 v[4:5], v[4:5], off glc slc
	s_waitcnt vmcnt(1)
	v_subrev_co_u32_e32 v6, vcc, s40, v6
	v_subb_co_u32_e32 v7, vcc, v7, v12, vcc
	s_waitcnt vmcnt(0)
	v_cmp_eq_f32_e32 vcc, 0, v4
	v_cmp_eq_f32_e64 s[2:3], 0, v5
	s_and_b64 s[2:3], vcc, s[2:3]
	v_cmp_eq_u64_e32 vcc, s[20:21], v[6:7]
	s_and_b64 s[2:3], s[2:3], vcc
	s_and_b64 s[2:3], s[26:27], s[2:3]
	s_and_saveexec_b64 s[4:5], s[2:3]
	s_cbranch_execz .LBB43_14
; %bb.11:                               ;   in Loop: Header=BB43_10 Depth=1
	v_mbcnt_lo_u32_b32 v1, exec_lo, 0
	v_mbcnt_hi_u32_b32 v1, exec_hi, v1
	v_cmp_eq_u32_e64 s[2:3], 0, v1
	s_and_saveexec_b64 s[34:35], s[2:3]
	s_cbranch_execz .LBB43_13
; %bb.12:                               ;   in Loop: Header=BB43_10 Depth=1
	v_pk_mov_b32 v[4:5], s[28:29], s[28:29] op_sel:[0,1]
	global_atomic_umin_x2 v14, v[4:5], s[24:25]
.LBB43_13:                              ;   in Loop: Header=BB43_10 Depth=1
	s_or_b64 exec, exec, s[34:35]
	v_mov_b32_e32 v4, 1.0
	v_mov_b32_e32 v5, 0
.LBB43_14:                              ;   in Loop: Header=BB43_10 Depth=1
	s_or_b64 exec, exec, s[4:5]
	v_cmp_ne_u64_e64 s[2:3], s[20:21], v[6:7]
	s_cmp_lt_i32 s9, 1
	s_mov_b64 s[34:35], 0
	s_cbranch_scc1 .LBB43_23
; %bb.15:                               ;   in Loop: Header=BB43_10 Depth=1
	s_cmp_eq_u32 s9, 1
	s_cbranch_scc0 .LBB43_24
; %bb.16:                               ;   in Loop: Header=BB43_10 Depth=1
	v_cmp_le_i64_e64 s[4:5], s[20:21], v[6:7]
	s_mov_b64 s[36:37], 0
	s_and_saveexec_b64 s[38:39], s[4:5]
	s_cbranch_execz .LBB43_22
; %bb.17:                               ;   in Loop: Header=BB43_10 Depth=1
	s_mov_b64 s[36:37], -1
	s_and_saveexec_b64 s[4:5], vcc
	s_xor_b64 s[4:5], exec, s[4:5]
	s_cbranch_execz .LBB43_21
; %bb.18:                               ;   in Loop: Header=BB43_10 Depth=1
	s_and_b64 vcc, exec, s[0:1]
	s_cbranch_vccnz .LBB43_20
; %bb.19:                               ;   in Loop: Header=BB43_10 Depth=1
	v_mul_f32_e32 v1, v5, v5
	v_fmac_f32_e32 v1, v4, v4
	v_div_scale_f32 v8, s[36:37], v1, v1, 1.0
	v_rcp_f32_e32 v9, v8
	v_div_scale_f32 v15, vcc, 1.0, v1, 1.0
	v_fma_f32 v16, -v8, v9, 1.0
	v_fmac_f32_e32 v9, v16, v9
	v_mul_f32_e32 v16, v15, v9
	v_fma_f32 v17, -v8, v16, v15
	v_fmac_f32_e32 v16, v17, v9
	v_fma_f32 v8, -v8, v16, v15
	v_div_fmas_f32 v8, v8, v9, v16
	v_div_fixup_f32 v8, v8, v1, 1.0
	v_fma_f32 v16, 0, v5, v4
	v_fma_f32 v17, v4, 0, -v5
	v_pk_mul_f32 v[8:9], v[16:17], v[8:9] op_sel_hi:[1,0]
	v_mov_b32_e32 v1, s8
	ds_write_b64 v1, v[8:9]
.LBB43_20:                              ;   in Loop: Header=BB43_10 Depth=1
	s_xor_b64 s[36:37], exec, -1
.LBB43_21:                              ;   in Loop: Header=BB43_10 Depth=1
	s_or_b64 exec, exec, s[4:5]
	s_and_b64 s[36:37], s[36:37], exec
.LBB43_22:                              ;   in Loop: Header=BB43_10 Depth=1
	s_or_b64 exec, exec, s[38:39]
	s_mov_b32 s17, 4
	v_pk_mov_b32 v[8:9], v[2:3], v[2:3] op_sel:[0,1]
	s_branch .LBB43_25
.LBB43_23:                              ;   in Loop: Header=BB43_10 Depth=1
	s_mov_b64 s[36:37], 0
                                        ; implicit-def: $vgpr8_vgpr9
                                        ; implicit-def: $sgpr17
	s_cbranch_execnz .LBB43_26
	s_branch .LBB43_28
.LBB43_24:                              ;   in Loop: Header=BB43_10 Depth=1
	s_mov_b64 s[36:37], -1
                                        ; implicit-def: $vgpr8_vgpr9
                                        ; implicit-def: $sgpr17
.LBB43_25:                              ;   in Loop: Header=BB43_10 Depth=1
	s_branch .LBB43_28
.LBB43_26:                              ;   in Loop: Header=BB43_10 Depth=1
	s_cmp_eq_u32 s9, 0
	s_cbranch_scc1 .LBB43_30
; %bb.27:                               ;   in Loop: Header=BB43_10 Depth=1
	s_mov_b64 s[36:37], -1
                                        ; implicit-def: $vgpr8_vgpr9
                                        ; implicit-def: $sgpr17
.LBB43_28:                              ;   in Loop: Header=BB43_10 Depth=1
	v_mov_b32_e32 v1, s17
	s_and_saveexec_b64 s[2:3], s[36:37]
	s_cbranch_execnz .LBB43_33
.LBB43_29:                              ;   in Loop: Header=BB43_10 Depth=1
	s_or_b64 exec, exec, s[2:3]
	s_and_saveexec_b64 s[2:3], s[34:35]
	s_cbranch_execnz .LBB43_37
	s_branch .LBB43_40
.LBB43_30:                              ;   in Loop: Header=BB43_10 Depth=1
	v_cmp_ge_i64_e32 vcc, s[20:21], v[6:7]
	s_mov_b64 s[36:37], 0
	s_and_saveexec_b64 s[4:5], vcc
; %bb.31:                               ;   in Loop: Header=BB43_10 Depth=1
	s_mov_b64 s[34:35], exec
	s_and_b64 s[36:37], s[2:3], exec
; %bb.32:                               ;   in Loop: Header=BB43_10 Depth=1
	s_or_b64 exec, exec, s[4:5]
	s_mov_b32 s17, 2
	v_pk_mov_b32 v[8:9], v[2:3], v[2:3] op_sel:[0,1]
	v_mov_b32_e32 v1, s17
	s_and_saveexec_b64 s[2:3], s[36:37]
	s_cbranch_execz .LBB43_29
.LBB43_33:                              ;   in Loop: Header=BB43_10 Depth=1
	v_lshlrev_b64 v[8:9], 2, v[6:7]
	v_mov_b32_e32 v1, s15
	v_add_co_u32_e32 v8, vcc, s14, v8
	v_addc_co_u32_e32 v9, vcc, v1, v9, vcc
	global_load_dword v1, v[8:9], off glc
	s_waitcnt vmcnt(0)
	v_cmp_eq_u32_e32 vcc, 0, v1
	s_and_saveexec_b64 s[4:5], vcc
	s_cbranch_execz .LBB43_36
; %bb.34:                               ;   in Loop: Header=BB43_10 Depth=1
	s_mov_b64 s[36:37], 0
.LBB43_35:                              ;   Parent Loop BB43_10 Depth=1
                                        ; =>  This Inner Loop Header: Depth=2
	global_load_dword v1, v[8:9], off glc
	s_waitcnt vmcnt(0)
	v_cmp_ne_u32_e32 vcc, 0, v1
	s_or_b64 s[36:37], vcc, s[36:37]
	s_andn2_b64 exec, exec, s[36:37]
	s_cbranch_execnz .LBB43_35
.LBB43_36:                              ;   in Loop: Header=BB43_10 Depth=1
	s_or_b64 exec, exec, s[4:5]
	v_lshlrev_b64 v[6:7], 3, v[6:7]
	v_mov_b32_e32 v1, s13
	v_add_co_u32_e32 v6, vcc, s12, v6
	v_addc_co_u32_e32 v7, vcc, v1, v7, vcc
	s_waitcnt lgkmcnt(0)
	buffer_wbinvl1_vol
	global_load_dwordx2 v[6:7], v[6:7], off
	v_mov_b32_e32 v1, 0
	s_andn2_b64 s[34:35], s[34:35], exec
	s_waitcnt vmcnt(0)
	v_pk_fma_f32 v[8:9], v[4:5], v[6:7], v[2:3] op_sel_hi:[1,0,1] neg_lo:[1,0,0] neg_hi:[1,0,0]
	v_pk_fma_f32 v[8:9], v[4:5], v[6:7], v[8:9] op_sel:[1,1,0] op_sel_hi:[0,1,1] neg_hi:[1,0,0]
	s_or_b64 exec, exec, s[2:3]
	s_and_saveexec_b64 s[2:3], s[34:35]
	s_cbranch_execz .LBB43_40
.LBB43_37:                              ;   in Loop: Header=BB43_10 Depth=1
	s_and_b64 vcc, exec, s[0:1]
	s_cbranch_vccnz .LBB43_39
; %bb.38:                               ;   in Loop: Header=BB43_10 Depth=1
	v_mul_f32_e32 v1, v5, v5
	v_fmac_f32_e32 v1, v4, v4
	v_div_scale_f32 v6, s[4:5], v1, v1, 1.0
	v_rcp_f32_e32 v7, v6
	v_div_scale_f32 v8, vcc, 1.0, v1, 1.0
	v_fma_f32 v9, -v6, v7, 1.0
	v_fmac_f32_e32 v7, v9, v7
	v_mul_f32_e32 v9, v8, v7
	v_fma_f32 v15, -v6, v9, v8
	v_fmac_f32_e32 v9, v15, v7
	v_fma_f32 v6, -v6, v9, v8
	v_div_fmas_f32 v6, v6, v7, v9
	v_div_fixup_f32 v6, v6, v1, 1.0
	v_fma_f32 v8, 0, v5, v4
	v_fma_f32 v9, v4, 0, -v5
	v_pk_mul_f32 v[4:5], v[8:9], v[6:7] op_sel_hi:[1,0]
	v_mov_b32_e32 v1, s8
	ds_write_b64 v1, v[4:5]
.LBB43_39:                              ;   in Loop: Header=BB43_10 Depth=1
	v_mov_b32_e32 v1, 2
	v_pk_mov_b32 v[8:9], v[2:3], v[2:3] op_sel:[0,1]
.LBB43_40:                              ;   in Loop: Header=BB43_10 Depth=1
	s_or_b64 exec, exec, s[2:3]
	v_cmp_gt_i32_e32 vcc, 4, v1
	s_mov_b64 s[2:3], -1
	s_mov_b64 s[4:5], -1
	s_and_saveexec_b64 s[34:35], vcc
; %bb.41:                               ;   in Loop: Header=BB43_10 Depth=1
	v_cmp_eq_u32_e32 vcc, 0, v1
	s_orn2_b64 s[4:5], vcc, exec
; %bb.42:                               ;   in Loop: Header=BB43_10 Depth=1
	s_or_b64 exec, exec, s[34:35]
	s_and_saveexec_b64 s[34:35], s[4:5]
	s_cbranch_execz .LBB43_9
; %bb.43:                               ;   in Loop: Header=BB43_10 Depth=1
	v_add_u32_e32 v0, 32, v0
	v_cmp_le_i32_e32 vcc, s33, v0
	s_orn2_b64 s[2:3], vcc, exec
	s_branch .LBB43_9
.LBB43_44:
	s_or_b64 exec, exec, s[30:31]
	v_pk_mov_b32 v[2:3], v[8:9], v[8:9] op_sel:[0,1]
.LBB43_45:
	s_or_b64 exec, exec, s[22:23]
	s_nop 0
	v_mov_b32_dpp v0, v2 row_shr:1 row_mask:0xf bank_mask:0xf
	v_mov_b32_dpp v1, v3 row_shr:1 row_mask:0xf bank_mask:0xf
	v_pk_add_f32 v[0:1], v[2:3], v[0:1]
	s_cmp_lg_u32 s10, 0
	s_nop 0
	v_mov_b32_dpp v2, v0 row_shr:2 row_mask:0xf bank_mask:0xf
	v_mov_b32_dpp v3, v1 row_shr:2 row_mask:0xf bank_mask:0xf
	v_pk_add_f32 v[0:1], v[0:1], v[2:3]
	s_nop 1
	v_mov_b32_dpp v2, v0 row_shr:4 row_mask:0xf bank_mask:0xe
	v_mov_b32_dpp v3, v1 row_shr:4 row_mask:0xf bank_mask:0xe
	v_pk_add_f32 v[0:1], v[0:1], v[2:3]
	;; [unrolled: 4-line block ×3, first 2 shown]
	s_nop 1
	v_mov_b32_dpp v2, v0 row_bcast:15 row_mask:0xa bank_mask:0xf
	v_mov_b32_dpp v3, v1 row_bcast:15 row_mask:0xa bank_mask:0xf
	v_pk_add_f32 v[0:1], v[0:1], v[2:3]
	s_cbranch_scc0 .LBB43_49
; %bb.46:
	v_cmp_eq_u32_e32 vcc, 31, v10
	s_and_saveexec_b64 s[0:1], vcc
	s_cbranch_execz .LBB43_48
.LBB43_47:
	s_lshl_b64 s[0:1], s[20:21], 3
	s_add_u32 s0, s12, s0
	s_addc_u32 s1, s13, s1
	v_mov_b32_e32 v2, 0
	s_add_u32 s2, s14, s6
	s_addc_u32 s3, s15, s7
	global_store_dwordx2 v2, v[0:1], s[0:1] glc slc
	v_mov_b32_e32 v0, 1
	s_waitcnt vmcnt(0)
	global_store_dword v2, v0, s[2:3]
.LBB43_48:
	s_endpgm
.LBB43_49:
	s_lshl_b32 s0, s11, 3
	v_mov_b32_e32 v2, s0
	s_waitcnt lgkmcnt(0)
	ds_read_b64 v[2:3], v2
	s_waitcnt lgkmcnt(0)
	v_pk_mul_f32 v[4:5], v[2:3], v[0:1] op_sel:[1,1] op_sel_hi:[1,0] neg_lo:[0,1]
	v_pk_fma_f32 v[0:1], v[0:1], v[2:3], v[4:5] op_sel_hi:[1,0,1]
	v_cmp_eq_u32_e32 vcc, 31, v10
	s_and_saveexec_b64 s[0:1], vcc
	s_cbranch_execnz .LBB43_47
	s_branch .LBB43_48
	.section	.rodata,"a",@progbits
	.p2align	6, 0x0
	.amdhsa_kernel _ZN9rocsparseL12csrsv_kernelILj1024ELj32ELb0Eil21rocsparse_complex_numIfEEEvT3_NS_24const_host_device_scalarIT4_EEPKT2_PKS3_PKS5_SD_lPS5_PiSB_iPS3_21rocsparse_index_base_20rocsparse_fill_mode_20rocsparse_diag_type_b
		.amdhsa_group_segment_fixed_size 256
		.amdhsa_private_segment_fixed_size 0
		.amdhsa_kernarg_size 112
		.amdhsa_user_sgpr_count 6
		.amdhsa_user_sgpr_private_segment_buffer 1
		.amdhsa_user_sgpr_dispatch_ptr 0
		.amdhsa_user_sgpr_queue_ptr 0
		.amdhsa_user_sgpr_kernarg_segment_ptr 1
		.amdhsa_user_sgpr_dispatch_id 0
		.amdhsa_user_sgpr_flat_scratch_init 0
		.amdhsa_user_sgpr_kernarg_preload_length 0
		.amdhsa_user_sgpr_kernarg_preload_offset 0
		.amdhsa_user_sgpr_private_segment_size 0
		.amdhsa_uses_dynamic_stack 0
		.amdhsa_system_sgpr_private_segment_wavefront_offset 0
		.amdhsa_system_sgpr_workgroup_id_x 1
		.amdhsa_system_sgpr_workgroup_id_y 0
		.amdhsa_system_sgpr_workgroup_id_z 0
		.amdhsa_system_sgpr_workgroup_info 0
		.amdhsa_system_vgpr_workitem_id 0
		.amdhsa_next_free_vgpr 18
		.amdhsa_next_free_sgpr 41
		.amdhsa_accum_offset 20
		.amdhsa_reserve_vcc 1
		.amdhsa_reserve_flat_scratch 0
		.amdhsa_float_round_mode_32 0
		.amdhsa_float_round_mode_16_64 0
		.amdhsa_float_denorm_mode_32 3
		.amdhsa_float_denorm_mode_16_64 3
		.amdhsa_dx10_clamp 1
		.amdhsa_ieee_mode 1
		.amdhsa_fp16_overflow 0
		.amdhsa_tg_split 0
		.amdhsa_exception_fp_ieee_invalid_op 0
		.amdhsa_exception_fp_denorm_src 0
		.amdhsa_exception_fp_ieee_div_zero 0
		.amdhsa_exception_fp_ieee_overflow 0
		.amdhsa_exception_fp_ieee_underflow 0
		.amdhsa_exception_fp_ieee_inexact 0
		.amdhsa_exception_int_div_zero 0
	.end_amdhsa_kernel
	.section	.text._ZN9rocsparseL12csrsv_kernelILj1024ELj32ELb0Eil21rocsparse_complex_numIfEEEvT3_NS_24const_host_device_scalarIT4_EEPKT2_PKS3_PKS5_SD_lPS5_PiSB_iPS3_21rocsparse_index_base_20rocsparse_fill_mode_20rocsparse_diag_type_b,"axG",@progbits,_ZN9rocsparseL12csrsv_kernelILj1024ELj32ELb0Eil21rocsparse_complex_numIfEEEvT3_NS_24const_host_device_scalarIT4_EEPKT2_PKS3_PKS5_SD_lPS5_PiSB_iPS3_21rocsparse_index_base_20rocsparse_fill_mode_20rocsparse_diag_type_b,comdat
.Lfunc_end43:
	.size	_ZN9rocsparseL12csrsv_kernelILj1024ELj32ELb0Eil21rocsparse_complex_numIfEEEvT3_NS_24const_host_device_scalarIT4_EEPKT2_PKS3_PKS5_SD_lPS5_PiSB_iPS3_21rocsparse_index_base_20rocsparse_fill_mode_20rocsparse_diag_type_b, .Lfunc_end43-_ZN9rocsparseL12csrsv_kernelILj1024ELj32ELb0Eil21rocsparse_complex_numIfEEEvT3_NS_24const_host_device_scalarIT4_EEPKT2_PKS3_PKS5_SD_lPS5_PiSB_iPS3_21rocsparse_index_base_20rocsparse_fill_mode_20rocsparse_diag_type_b
                                        ; -- End function
	.section	.AMDGPU.csdata,"",@progbits
; Kernel info:
; codeLenInByte = 1604
; NumSgprs: 45
; NumVgprs: 18
; NumAgprs: 0
; TotalNumVgprs: 18
; ScratchSize: 0
; MemoryBound: 0
; FloatMode: 240
; IeeeMode: 1
; LDSByteSize: 256 bytes/workgroup (compile time only)
; SGPRBlocks: 5
; VGPRBlocks: 2
; NumSGPRsForWavesPerEU: 45
; NumVGPRsForWavesPerEU: 18
; AccumOffset: 20
; Occupancy: 8
; WaveLimiterHint : 1
; COMPUTE_PGM_RSRC2:SCRATCH_EN: 0
; COMPUTE_PGM_RSRC2:USER_SGPR: 6
; COMPUTE_PGM_RSRC2:TRAP_HANDLER: 0
; COMPUTE_PGM_RSRC2:TGID_X_EN: 1
; COMPUTE_PGM_RSRC2:TGID_Y_EN: 0
; COMPUTE_PGM_RSRC2:TGID_Z_EN: 0
; COMPUTE_PGM_RSRC2:TIDIG_COMP_CNT: 0
; COMPUTE_PGM_RSRC3_GFX90A:ACCUM_OFFSET: 4
; COMPUTE_PGM_RSRC3_GFX90A:TG_SPLIT: 0
	.section	.text._ZN9rocsparseL12csrsv_kernelILj1024ELj64ELb0Eil21rocsparse_complex_numIfEEEvT3_NS_24const_host_device_scalarIT4_EEPKT2_PKS3_PKS5_SD_lPS5_PiSB_iPS3_21rocsparse_index_base_20rocsparse_fill_mode_20rocsparse_diag_type_b,"axG",@progbits,_ZN9rocsparseL12csrsv_kernelILj1024ELj64ELb0Eil21rocsparse_complex_numIfEEEvT3_NS_24const_host_device_scalarIT4_EEPKT2_PKS3_PKS5_SD_lPS5_PiSB_iPS3_21rocsparse_index_base_20rocsparse_fill_mode_20rocsparse_diag_type_b,comdat
	.globl	_ZN9rocsparseL12csrsv_kernelILj1024ELj64ELb0Eil21rocsparse_complex_numIfEEEvT3_NS_24const_host_device_scalarIT4_EEPKT2_PKS3_PKS5_SD_lPS5_PiSB_iPS3_21rocsparse_index_base_20rocsparse_fill_mode_20rocsparse_diag_type_b ; -- Begin function _ZN9rocsparseL12csrsv_kernelILj1024ELj64ELb0Eil21rocsparse_complex_numIfEEEvT3_NS_24const_host_device_scalarIT4_EEPKT2_PKS3_PKS5_SD_lPS5_PiSB_iPS3_21rocsparse_index_base_20rocsparse_fill_mode_20rocsparse_diag_type_b
	.p2align	8
	.type	_ZN9rocsparseL12csrsv_kernelILj1024ELj64ELb0Eil21rocsparse_complex_numIfEEEvT3_NS_24const_host_device_scalarIT4_EEPKT2_PKS3_PKS5_SD_lPS5_PiSB_iPS3_21rocsparse_index_base_20rocsparse_fill_mode_20rocsparse_diag_type_b,@function
_ZN9rocsparseL12csrsv_kernelILj1024ELj64ELb0Eil21rocsparse_complex_numIfEEEvT3_NS_24const_host_device_scalarIT4_EEPKT2_PKS3_PKS5_SD_lPS5_PiSB_iPS3_21rocsparse_index_base_20rocsparse_fill_mode_20rocsparse_diag_type_b: ; @_ZN9rocsparseL12csrsv_kernelILj1024ELj64ELb0Eil21rocsparse_complex_numIfEEEvT3_NS_24const_host_device_scalarIT4_EEPKT2_PKS3_PKS5_SD_lPS5_PiSB_iPS3_21rocsparse_index_base_20rocsparse_fill_mode_20rocsparse_diag_type_b
; %bb.0:
	s_load_dwordx4 s[8:11], s[4:5], 0x60
	s_load_dwordx4 s[0:3], s[4:5], 0x0
	s_waitcnt lgkmcnt(0)
	s_bitcmp1_b32 s11, 0
	s_cselect_b64 s[14:15], -1, 0
	s_xor_b64 s[12:13], s[14:15], -1
	s_and_b64 vcc, exec, s[14:15]
	s_mov_b32 s16, s2
	s_cbranch_vccnz .LBB44_2
; %bb.1:
	s_load_dword s16, s[2:3], 0x0
.LBB44_2:
	s_andn2_b64 vcc, exec, s[12:13]
	s_cbranch_vccnz .LBB44_4
; %bb.3:
	s_load_dword s3, s[2:3], 0x4
.LBB44_4:
	v_lshrrev_b32_e32 v1, 6, v0
	v_mov_b32_e32 v2, s0
	v_readfirstlane_b32 s11, v1
	s_lshl_b32 s0, s6, 4
	v_mov_b32_e32 v3, s1
	s_add_i32 s18, s11, s0
	s_mov_b32 s19, 0
	v_cmp_ge_i64_e32 vcc, s[18:19], v[2:3]
	s_cbranch_vccnz .LBB44_48
; %bb.5:
	s_load_dword s0, s[4:5], 0x50
	s_load_dwordx2 s[6:7], s[4:5], 0x48
	s_lshl_b64 s[12:13], s[18:19], 3
	v_and_b32_e32 v10, 63, v0
	s_mov_b32 s18, s19
	s_waitcnt lgkmcnt(0)
	s_ashr_i32 s1, s0, 31
	s_add_u32 s2, s6, s12
	s_addc_u32 s6, s7, s13
	s_lshl_b64 s[0:1], s[0:1], 3
	s_add_u32 s0, s2, s0
	s_addc_u32 s1, s6, s1
	s_load_dwordx2 s[20:21], s[0:1], 0x0
	s_load_dwordx2 s[22:23], s[4:5], 0x10
	s_load_dwordx4 s[12:15], s[4:5], 0x38
	v_cmp_eq_u32_e32 vcc, 0, v10
	v_pk_mov_b32 v[2:3], s[18:19], s[18:19] op_sel:[0,1]
	s_waitcnt lgkmcnt(0)
	s_lshl_b64 s[6:7], s[20:21], 2
	s_add_u32 s0, s22, s6
	s_addc_u32 s1, s23, s7
	s_load_dwordx2 s[0:1], s[0:1], 0x0
	s_and_saveexec_b64 s[18:19], vcc
	s_cbranch_execz .LBB44_7
; %bb.6:
	s_load_dwordx4 s[24:27], s[4:5], 0x28
	v_mov_b32_e32 v1, s16
	s_waitcnt lgkmcnt(0)
	s_mul_i32 s2, s20, s27
	s_mul_hi_u32 s17, s20, s26
	s_mul_i32 s23, s21, s26
	s_add_i32 s2, s17, s2
	s_mul_i32 s22, s20, s26
	s_add_i32 s23, s2, s23
	s_lshl_b64 s[22:23], s[22:23], 3
	s_add_u32 s22, s24, s22
	s_addc_u32 s23, s25, s23
	s_load_dwordx2 s[22:23], s[22:23], 0x0
	s_xor_b32 s2, s3, 0x80000000
	v_mov_b32_e32 v0, s2
	s_mov_b32 s17, s3
	s_waitcnt lgkmcnt(0)
	v_pk_mul_f32 v[0:1], s[22:23], v[0:1] op_sel:[1,0]
	v_pk_mov_b32 v[2:3], s[22:23], s[22:23] op_sel:[0,1]
	v_pk_fma_f32 v[2:3], s[16:17], v[2:3], v[0:1] op_sel_hi:[1,0,1]
.LBB44_7:
	s_or_b64 exec, exec, s[18:19]
	v_subrev_u32_e32 v0, s8, v10
	s_waitcnt lgkmcnt(0)
	s_sub_i32 s33, s1, s8
	v_add_u32_e32 v0, s0, v0
	v_cmp_gt_i32_e32 vcc, s33, v0
	s_and_saveexec_b64 s[22:23], vcc
	s_cbranch_execz .LBB44_45
; %bb.8:
	s_load_dwordx2 s[24:25], s[4:5], 0x58
	s_load_dwordx4 s[16:19], s[4:5], 0x18
	s_cmp_eq_u32 s10, 0
	s_cselect_b64 s[26:27], -1, 0
	s_mov_b32 s0, 0
	s_add_u32 s28, s20, s8
	v_cndmask_b32_e64 v1, 0, 1, s[26:27]
	s_mov_b32 s40, s8
	s_addc_u32 s29, s21, 0
	s_lshl_b32 s8, s11, 3
	s_mov_b64 s[30:31], 0
	s_waitcnt lgkmcnt(0)
	v_mov_b32_e32 v11, s17
	v_mov_b32_e32 v12, s0
	;; [unrolled: 1-line block ×4, first 2 shown]
	v_cmp_ne_u32_e64 s[0:1], 1, v1
	s_branch .LBB44_10
.LBB44_9:                               ;   in Loop: Header=BB44_10 Depth=1
	s_or_b64 exec, exec, s[34:35]
	s_and_b64 s[2:3], exec, s[2:3]
	s_or_b64 s[30:31], s[2:3], s[30:31]
	v_pk_mov_b32 v[2:3], v[8:9], v[8:9] op_sel:[0,1]
	s_andn2_b64 exec, exec, s[30:31]
	s_cbranch_execz .LBB44_44
.LBB44_10:                              ; =>This Loop Header: Depth=1
                                        ;     Child Loop BB44_35 Depth 2
	v_ashrrev_i32_e32 v1, 31, v0
	v_lshlrev_b64 v[4:5], 3, v[0:1]
	v_add_co_u32_e32 v6, vcc, s16, v4
	v_addc_co_u32_e32 v7, vcc, v11, v5, vcc
	global_load_dwordx2 v[6:7], v[6:7], off glc slc
	v_add_co_u32_e32 v4, vcc, s18, v4
	v_addc_co_u32_e32 v5, vcc, v13, v5, vcc
	global_load_dwordx2 v[4:5], v[4:5], off glc slc
	s_waitcnt vmcnt(1)
	v_subrev_co_u32_e32 v6, vcc, s40, v6
	v_subb_co_u32_e32 v7, vcc, v7, v12, vcc
	s_waitcnt vmcnt(0)
	v_cmp_eq_f32_e32 vcc, 0, v4
	v_cmp_eq_f32_e64 s[2:3], 0, v5
	s_and_b64 s[2:3], vcc, s[2:3]
	v_cmp_eq_u64_e32 vcc, s[20:21], v[6:7]
	s_and_b64 s[2:3], s[2:3], vcc
	s_and_b64 s[2:3], s[26:27], s[2:3]
	s_and_saveexec_b64 s[4:5], s[2:3]
	s_cbranch_execz .LBB44_14
; %bb.11:                               ;   in Loop: Header=BB44_10 Depth=1
	v_mbcnt_lo_u32_b32 v1, exec_lo, 0
	v_mbcnt_hi_u32_b32 v1, exec_hi, v1
	v_cmp_eq_u32_e64 s[2:3], 0, v1
	s_and_saveexec_b64 s[34:35], s[2:3]
	s_cbranch_execz .LBB44_13
; %bb.12:                               ;   in Loop: Header=BB44_10 Depth=1
	v_pk_mov_b32 v[4:5], s[28:29], s[28:29] op_sel:[0,1]
	global_atomic_umin_x2 v14, v[4:5], s[24:25]
.LBB44_13:                              ;   in Loop: Header=BB44_10 Depth=1
	s_or_b64 exec, exec, s[34:35]
	v_mov_b32_e32 v4, 1.0
	v_mov_b32_e32 v5, 0
.LBB44_14:                              ;   in Loop: Header=BB44_10 Depth=1
	s_or_b64 exec, exec, s[4:5]
	v_cmp_ne_u64_e64 s[2:3], s[20:21], v[6:7]
	s_cmp_lt_i32 s9, 1
	s_mov_b64 s[34:35], 0
	s_cbranch_scc1 .LBB44_23
; %bb.15:                               ;   in Loop: Header=BB44_10 Depth=1
	s_cmp_eq_u32 s9, 1
	s_cbranch_scc0 .LBB44_24
; %bb.16:                               ;   in Loop: Header=BB44_10 Depth=1
	v_cmp_le_i64_e64 s[4:5], s[20:21], v[6:7]
	s_mov_b64 s[36:37], 0
	s_and_saveexec_b64 s[38:39], s[4:5]
	s_cbranch_execz .LBB44_22
; %bb.17:                               ;   in Loop: Header=BB44_10 Depth=1
	s_mov_b64 s[36:37], -1
	s_and_saveexec_b64 s[4:5], vcc
	s_xor_b64 s[4:5], exec, s[4:5]
	s_cbranch_execz .LBB44_21
; %bb.18:                               ;   in Loop: Header=BB44_10 Depth=1
	s_and_b64 vcc, exec, s[0:1]
	s_cbranch_vccnz .LBB44_20
; %bb.19:                               ;   in Loop: Header=BB44_10 Depth=1
	v_mul_f32_e32 v1, v5, v5
	v_fmac_f32_e32 v1, v4, v4
	v_div_scale_f32 v8, s[36:37], v1, v1, 1.0
	v_rcp_f32_e32 v9, v8
	v_div_scale_f32 v15, vcc, 1.0, v1, 1.0
	v_fma_f32 v16, -v8, v9, 1.0
	v_fmac_f32_e32 v9, v16, v9
	v_mul_f32_e32 v16, v15, v9
	v_fma_f32 v17, -v8, v16, v15
	v_fmac_f32_e32 v16, v17, v9
	v_fma_f32 v8, -v8, v16, v15
	v_div_fmas_f32 v8, v8, v9, v16
	v_div_fixup_f32 v8, v8, v1, 1.0
	v_fma_f32 v16, 0, v5, v4
	v_fma_f32 v17, v4, 0, -v5
	v_pk_mul_f32 v[8:9], v[16:17], v[8:9] op_sel_hi:[1,0]
	v_mov_b32_e32 v1, s8
	ds_write_b64 v1, v[8:9]
.LBB44_20:                              ;   in Loop: Header=BB44_10 Depth=1
	s_xor_b64 s[36:37], exec, -1
.LBB44_21:                              ;   in Loop: Header=BB44_10 Depth=1
	s_or_b64 exec, exec, s[4:5]
	s_and_b64 s[36:37], s[36:37], exec
.LBB44_22:                              ;   in Loop: Header=BB44_10 Depth=1
	s_or_b64 exec, exec, s[38:39]
	s_mov_b32 s17, 4
	v_pk_mov_b32 v[8:9], v[2:3], v[2:3] op_sel:[0,1]
	s_branch .LBB44_25
.LBB44_23:                              ;   in Loop: Header=BB44_10 Depth=1
	s_mov_b64 s[36:37], 0
                                        ; implicit-def: $vgpr8_vgpr9
                                        ; implicit-def: $sgpr17
	s_cbranch_execnz .LBB44_26
	s_branch .LBB44_28
.LBB44_24:                              ;   in Loop: Header=BB44_10 Depth=1
	s_mov_b64 s[36:37], -1
                                        ; implicit-def: $vgpr8_vgpr9
                                        ; implicit-def: $sgpr17
.LBB44_25:                              ;   in Loop: Header=BB44_10 Depth=1
	s_branch .LBB44_28
.LBB44_26:                              ;   in Loop: Header=BB44_10 Depth=1
	s_cmp_eq_u32 s9, 0
	s_cbranch_scc1 .LBB44_30
; %bb.27:                               ;   in Loop: Header=BB44_10 Depth=1
	s_mov_b64 s[36:37], -1
                                        ; implicit-def: $vgpr8_vgpr9
                                        ; implicit-def: $sgpr17
.LBB44_28:                              ;   in Loop: Header=BB44_10 Depth=1
	v_mov_b32_e32 v1, s17
	s_and_saveexec_b64 s[2:3], s[36:37]
	s_cbranch_execnz .LBB44_33
.LBB44_29:                              ;   in Loop: Header=BB44_10 Depth=1
	s_or_b64 exec, exec, s[2:3]
	s_and_saveexec_b64 s[2:3], s[34:35]
	s_cbranch_execnz .LBB44_37
	s_branch .LBB44_40
.LBB44_30:                              ;   in Loop: Header=BB44_10 Depth=1
	v_cmp_ge_i64_e32 vcc, s[20:21], v[6:7]
	s_mov_b64 s[36:37], 0
	s_and_saveexec_b64 s[4:5], vcc
; %bb.31:                               ;   in Loop: Header=BB44_10 Depth=1
	s_mov_b64 s[34:35], exec
	s_and_b64 s[36:37], s[2:3], exec
; %bb.32:                               ;   in Loop: Header=BB44_10 Depth=1
	s_or_b64 exec, exec, s[4:5]
	s_mov_b32 s17, 2
	v_pk_mov_b32 v[8:9], v[2:3], v[2:3] op_sel:[0,1]
	v_mov_b32_e32 v1, s17
	s_and_saveexec_b64 s[2:3], s[36:37]
	s_cbranch_execz .LBB44_29
.LBB44_33:                              ;   in Loop: Header=BB44_10 Depth=1
	v_lshlrev_b64 v[8:9], 2, v[6:7]
	v_mov_b32_e32 v1, s15
	v_add_co_u32_e32 v8, vcc, s14, v8
	v_addc_co_u32_e32 v9, vcc, v1, v9, vcc
	global_load_dword v1, v[8:9], off glc
	s_waitcnt vmcnt(0)
	v_cmp_eq_u32_e32 vcc, 0, v1
	s_and_saveexec_b64 s[4:5], vcc
	s_cbranch_execz .LBB44_36
; %bb.34:                               ;   in Loop: Header=BB44_10 Depth=1
	s_mov_b64 s[36:37], 0
.LBB44_35:                              ;   Parent Loop BB44_10 Depth=1
                                        ; =>  This Inner Loop Header: Depth=2
	global_load_dword v1, v[8:9], off glc
	s_waitcnt vmcnt(0)
	v_cmp_ne_u32_e32 vcc, 0, v1
	s_or_b64 s[36:37], vcc, s[36:37]
	s_andn2_b64 exec, exec, s[36:37]
	s_cbranch_execnz .LBB44_35
.LBB44_36:                              ;   in Loop: Header=BB44_10 Depth=1
	s_or_b64 exec, exec, s[4:5]
	v_lshlrev_b64 v[6:7], 3, v[6:7]
	v_mov_b32_e32 v1, s13
	v_add_co_u32_e32 v6, vcc, s12, v6
	v_addc_co_u32_e32 v7, vcc, v1, v7, vcc
	s_waitcnt lgkmcnt(0)
	buffer_wbinvl1_vol
	global_load_dwordx2 v[6:7], v[6:7], off
	v_mov_b32_e32 v1, 0
	s_andn2_b64 s[34:35], s[34:35], exec
	s_waitcnt vmcnt(0)
	v_pk_fma_f32 v[8:9], v[4:5], v[6:7], v[2:3] op_sel_hi:[1,0,1] neg_lo:[1,0,0] neg_hi:[1,0,0]
	v_pk_fma_f32 v[8:9], v[4:5], v[6:7], v[8:9] op_sel:[1,1,0] op_sel_hi:[0,1,1] neg_hi:[1,0,0]
	s_or_b64 exec, exec, s[2:3]
	s_and_saveexec_b64 s[2:3], s[34:35]
	s_cbranch_execz .LBB44_40
.LBB44_37:                              ;   in Loop: Header=BB44_10 Depth=1
	s_and_b64 vcc, exec, s[0:1]
	s_cbranch_vccnz .LBB44_39
; %bb.38:                               ;   in Loop: Header=BB44_10 Depth=1
	v_mul_f32_e32 v1, v5, v5
	v_fmac_f32_e32 v1, v4, v4
	v_div_scale_f32 v6, s[4:5], v1, v1, 1.0
	v_rcp_f32_e32 v7, v6
	v_div_scale_f32 v8, vcc, 1.0, v1, 1.0
	v_fma_f32 v9, -v6, v7, 1.0
	v_fmac_f32_e32 v7, v9, v7
	v_mul_f32_e32 v9, v8, v7
	v_fma_f32 v15, -v6, v9, v8
	v_fmac_f32_e32 v9, v15, v7
	v_fma_f32 v6, -v6, v9, v8
	v_div_fmas_f32 v6, v6, v7, v9
	v_div_fixup_f32 v6, v6, v1, 1.0
	v_fma_f32 v8, 0, v5, v4
	v_fma_f32 v9, v4, 0, -v5
	v_pk_mul_f32 v[4:5], v[8:9], v[6:7] op_sel_hi:[1,0]
	v_mov_b32_e32 v1, s8
	ds_write_b64 v1, v[4:5]
.LBB44_39:                              ;   in Loop: Header=BB44_10 Depth=1
	v_mov_b32_e32 v1, 2
	v_pk_mov_b32 v[8:9], v[2:3], v[2:3] op_sel:[0,1]
.LBB44_40:                              ;   in Loop: Header=BB44_10 Depth=1
	s_or_b64 exec, exec, s[2:3]
	v_cmp_gt_i32_e32 vcc, 4, v1
	s_mov_b64 s[2:3], -1
	s_mov_b64 s[4:5], -1
	s_and_saveexec_b64 s[34:35], vcc
; %bb.41:                               ;   in Loop: Header=BB44_10 Depth=1
	v_cmp_eq_u32_e32 vcc, 0, v1
	s_orn2_b64 s[4:5], vcc, exec
; %bb.42:                               ;   in Loop: Header=BB44_10 Depth=1
	s_or_b64 exec, exec, s[34:35]
	s_and_saveexec_b64 s[34:35], s[4:5]
	s_cbranch_execz .LBB44_9
; %bb.43:                               ;   in Loop: Header=BB44_10 Depth=1
	v_add_u32_e32 v0, 64, v0
	v_cmp_le_i32_e32 vcc, s33, v0
	s_orn2_b64 s[2:3], vcc, exec
	s_branch .LBB44_9
.LBB44_44:
	s_or_b64 exec, exec, s[30:31]
	v_pk_mov_b32 v[2:3], v[8:9], v[8:9] op_sel:[0,1]
.LBB44_45:
	s_or_b64 exec, exec, s[22:23]
	s_nop 0
	v_mov_b32_dpp v0, v2 row_shr:1 row_mask:0xf bank_mask:0xf
	v_mov_b32_dpp v1, v3 row_shr:1 row_mask:0xf bank_mask:0xf
	v_pk_add_f32 v[0:1], v[2:3], v[0:1]
	s_cmp_lg_u32 s10, 0
	s_nop 0
	v_mov_b32_dpp v2, v0 row_shr:2 row_mask:0xf bank_mask:0xf
	v_mov_b32_dpp v3, v1 row_shr:2 row_mask:0xf bank_mask:0xf
	v_pk_add_f32 v[0:1], v[0:1], v[2:3]
	s_nop 1
	v_mov_b32_dpp v2, v0 row_shr:4 row_mask:0xf bank_mask:0xe
	v_mov_b32_dpp v3, v1 row_shr:4 row_mask:0xf bank_mask:0xe
	v_pk_add_f32 v[0:1], v[0:1], v[2:3]
	;; [unrolled: 4-line block ×3, first 2 shown]
	s_nop 1
	v_mov_b32_dpp v2, v0 row_bcast:15 row_mask:0xa bank_mask:0xf
	v_mov_b32_dpp v3, v1 row_bcast:15 row_mask:0xa bank_mask:0xf
	v_pk_add_f32 v[0:1], v[0:1], v[2:3]
	s_nop 1
	v_mov_b32_dpp v2, v0 row_bcast:31 row_mask:0xc bank_mask:0xf
	v_mov_b32_dpp v3, v1 row_bcast:31 row_mask:0xc bank_mask:0xf
	v_pk_add_f32 v[0:1], v[0:1], v[2:3]
	s_cbranch_scc0 .LBB44_49
; %bb.46:
	v_cmp_eq_u32_e32 vcc, 63, v10
	s_and_saveexec_b64 s[0:1], vcc
	s_cbranch_execz .LBB44_48
.LBB44_47:
	s_lshl_b64 s[0:1], s[20:21], 3
	s_add_u32 s0, s12, s0
	s_addc_u32 s1, s13, s1
	v_mov_b32_e32 v2, 0
	s_add_u32 s2, s14, s6
	s_addc_u32 s3, s15, s7
	global_store_dwordx2 v2, v[0:1], s[0:1] glc slc
	v_mov_b32_e32 v0, 1
	s_waitcnt vmcnt(0)
	global_store_dword v2, v0, s[2:3]
.LBB44_48:
	s_endpgm
.LBB44_49:
	s_lshl_b32 s0, s11, 3
	v_mov_b32_e32 v2, s0
	s_waitcnt lgkmcnt(0)
	ds_read_b64 v[2:3], v2
	s_waitcnt lgkmcnt(0)
	v_pk_mul_f32 v[4:5], v[2:3], v[0:1] op_sel:[1,1] op_sel_hi:[1,0] neg_lo:[0,1]
	v_pk_fma_f32 v[0:1], v[0:1], v[2:3], v[4:5] op_sel_hi:[1,0,1]
	v_cmp_eq_u32_e32 vcc, 63, v10
	s_and_saveexec_b64 s[0:1], vcc
	s_cbranch_execnz .LBB44_47
	s_branch .LBB44_48
	.section	.rodata,"a",@progbits
	.p2align	6, 0x0
	.amdhsa_kernel _ZN9rocsparseL12csrsv_kernelILj1024ELj64ELb0Eil21rocsparse_complex_numIfEEEvT3_NS_24const_host_device_scalarIT4_EEPKT2_PKS3_PKS5_SD_lPS5_PiSB_iPS3_21rocsparse_index_base_20rocsparse_fill_mode_20rocsparse_diag_type_b
		.amdhsa_group_segment_fixed_size 128
		.amdhsa_private_segment_fixed_size 0
		.amdhsa_kernarg_size 112
		.amdhsa_user_sgpr_count 6
		.amdhsa_user_sgpr_private_segment_buffer 1
		.amdhsa_user_sgpr_dispatch_ptr 0
		.amdhsa_user_sgpr_queue_ptr 0
		.amdhsa_user_sgpr_kernarg_segment_ptr 1
		.amdhsa_user_sgpr_dispatch_id 0
		.amdhsa_user_sgpr_flat_scratch_init 0
		.amdhsa_user_sgpr_kernarg_preload_length 0
		.amdhsa_user_sgpr_kernarg_preload_offset 0
		.amdhsa_user_sgpr_private_segment_size 0
		.amdhsa_uses_dynamic_stack 0
		.amdhsa_system_sgpr_private_segment_wavefront_offset 0
		.amdhsa_system_sgpr_workgroup_id_x 1
		.amdhsa_system_sgpr_workgroup_id_y 0
		.amdhsa_system_sgpr_workgroup_id_z 0
		.amdhsa_system_sgpr_workgroup_info 0
		.amdhsa_system_vgpr_workitem_id 0
		.amdhsa_next_free_vgpr 18
		.amdhsa_next_free_sgpr 41
		.amdhsa_accum_offset 20
		.amdhsa_reserve_vcc 1
		.amdhsa_reserve_flat_scratch 0
		.amdhsa_float_round_mode_32 0
		.amdhsa_float_round_mode_16_64 0
		.amdhsa_float_denorm_mode_32 3
		.amdhsa_float_denorm_mode_16_64 3
		.amdhsa_dx10_clamp 1
		.amdhsa_ieee_mode 1
		.amdhsa_fp16_overflow 0
		.amdhsa_tg_split 0
		.amdhsa_exception_fp_ieee_invalid_op 0
		.amdhsa_exception_fp_denorm_src 0
		.amdhsa_exception_fp_ieee_div_zero 0
		.amdhsa_exception_fp_ieee_overflow 0
		.amdhsa_exception_fp_ieee_underflow 0
		.amdhsa_exception_fp_ieee_inexact 0
		.amdhsa_exception_int_div_zero 0
	.end_amdhsa_kernel
	.section	.text._ZN9rocsparseL12csrsv_kernelILj1024ELj64ELb0Eil21rocsparse_complex_numIfEEEvT3_NS_24const_host_device_scalarIT4_EEPKT2_PKS3_PKS5_SD_lPS5_PiSB_iPS3_21rocsparse_index_base_20rocsparse_fill_mode_20rocsparse_diag_type_b,"axG",@progbits,_ZN9rocsparseL12csrsv_kernelILj1024ELj64ELb0Eil21rocsparse_complex_numIfEEEvT3_NS_24const_host_device_scalarIT4_EEPKT2_PKS3_PKS5_SD_lPS5_PiSB_iPS3_21rocsparse_index_base_20rocsparse_fill_mode_20rocsparse_diag_type_b,comdat
.Lfunc_end44:
	.size	_ZN9rocsparseL12csrsv_kernelILj1024ELj64ELb0Eil21rocsparse_complex_numIfEEEvT3_NS_24const_host_device_scalarIT4_EEPKT2_PKS3_PKS5_SD_lPS5_PiSB_iPS3_21rocsparse_index_base_20rocsparse_fill_mode_20rocsparse_diag_type_b, .Lfunc_end44-_ZN9rocsparseL12csrsv_kernelILj1024ELj64ELb0Eil21rocsparse_complex_numIfEEEvT3_NS_24const_host_device_scalarIT4_EEPKT2_PKS3_PKS5_SD_lPS5_PiSB_iPS3_21rocsparse_index_base_20rocsparse_fill_mode_20rocsparse_diag_type_b
                                        ; -- End function
	.section	.AMDGPU.csdata,"",@progbits
; Kernel info:
; codeLenInByte = 1632
; NumSgprs: 45
; NumVgprs: 18
; NumAgprs: 0
; TotalNumVgprs: 18
; ScratchSize: 0
; MemoryBound: 0
; FloatMode: 240
; IeeeMode: 1
; LDSByteSize: 128 bytes/workgroup (compile time only)
; SGPRBlocks: 5
; VGPRBlocks: 2
; NumSGPRsForWavesPerEU: 45
; NumVGPRsForWavesPerEU: 18
; AccumOffset: 20
; Occupancy: 8
; WaveLimiterHint : 1
; COMPUTE_PGM_RSRC2:SCRATCH_EN: 0
; COMPUTE_PGM_RSRC2:USER_SGPR: 6
; COMPUTE_PGM_RSRC2:TRAP_HANDLER: 0
; COMPUTE_PGM_RSRC2:TGID_X_EN: 1
; COMPUTE_PGM_RSRC2:TGID_Y_EN: 0
; COMPUTE_PGM_RSRC2:TGID_Z_EN: 0
; COMPUTE_PGM_RSRC2:TIDIG_COMP_CNT: 0
; COMPUTE_PGM_RSRC3_GFX90A:ACCUM_OFFSET: 4
; COMPUTE_PGM_RSRC3_GFX90A:TG_SPLIT: 0
	.section	.text._ZN9rocsparseL12csrsv_kernelILj1024ELj64ELb1Eil21rocsparse_complex_numIdEEEvT3_NS_24const_host_device_scalarIT4_EEPKT2_PKS3_PKS5_SD_lPS5_PiSB_iPS3_21rocsparse_index_base_20rocsparse_fill_mode_20rocsparse_diag_type_b,"axG",@progbits,_ZN9rocsparseL12csrsv_kernelILj1024ELj64ELb1Eil21rocsparse_complex_numIdEEEvT3_NS_24const_host_device_scalarIT4_EEPKT2_PKS3_PKS5_SD_lPS5_PiSB_iPS3_21rocsparse_index_base_20rocsparse_fill_mode_20rocsparse_diag_type_b,comdat
	.globl	_ZN9rocsparseL12csrsv_kernelILj1024ELj64ELb1Eil21rocsparse_complex_numIdEEEvT3_NS_24const_host_device_scalarIT4_EEPKT2_PKS3_PKS5_SD_lPS5_PiSB_iPS3_21rocsparse_index_base_20rocsparse_fill_mode_20rocsparse_diag_type_b ; -- Begin function _ZN9rocsparseL12csrsv_kernelILj1024ELj64ELb1Eil21rocsparse_complex_numIdEEEvT3_NS_24const_host_device_scalarIT4_EEPKT2_PKS3_PKS5_SD_lPS5_PiSB_iPS3_21rocsparse_index_base_20rocsparse_fill_mode_20rocsparse_diag_type_b
	.p2align	8
	.type	_ZN9rocsparseL12csrsv_kernelILj1024ELj64ELb1Eil21rocsparse_complex_numIdEEEvT3_NS_24const_host_device_scalarIT4_EEPKT2_PKS3_PKS5_SD_lPS5_PiSB_iPS3_21rocsparse_index_base_20rocsparse_fill_mode_20rocsparse_diag_type_b,@function
_ZN9rocsparseL12csrsv_kernelILj1024ELj64ELb1Eil21rocsparse_complex_numIdEEEvT3_NS_24const_host_device_scalarIT4_EEPKT2_PKS3_PKS5_SD_lPS5_PiSB_iPS3_21rocsparse_index_base_20rocsparse_fill_mode_20rocsparse_diag_type_b: ; @_ZN9rocsparseL12csrsv_kernelILj1024ELj64ELb1Eil21rocsparse_complex_numIdEEEvT3_NS_24const_host_device_scalarIT4_EEPKT2_PKS3_PKS5_SD_lPS5_PiSB_iPS3_21rocsparse_index_base_20rocsparse_fill_mode_20rocsparse_diag_type_b
; %bb.0:
	s_load_dwordx4 s[12:15], s[6:7], 0x68
	s_load_dwordx2 s[10:11], s[4:5], 0x4
	s_load_dwordx4 s[0:3], s[6:7], 0x0
	s_load_dwordx2 s[16:17], s[6:7], 0x10
	v_and_b32_e32 v4, 0x3ff, v0
	v_bfe_u32 v2, v0, 10, 10
	s_waitcnt lgkmcnt(0)
	s_lshr_b32 s5, s10, 16
	s_mul_i32 s5, s5, s11
	v_mul_lo_u32 v1, s5, v4
	s_and_b32 s4, 1, s15
	v_mad_u32_u24 v1, v2, s11, v1
	v_bfe_u32 v0, v0, 20, 10
	s_cmp_eq_u32 s4, 1
	v_add_lshl_u32 v2, v1, v0, 3
	v_add_u32_e32 v3, 0x100, v2
	v_pk_mov_b32 v[0:1], s[2:3], s[2:3] op_sel:[0,1]
	s_cselect_b64 vcc, -1, 0
	ds_write_b64 v2, v[0:1] offset:256
	s_mov_b64 s[4:5], src_shared_base
	v_cndmask_b32_e32 v0, v0, v3, vcc
	s_and_b64 vcc, vcc, exec
	s_cselect_b32 s4, s5, s3
	v_mov_b32_e32 v1, s4
	flat_load_dwordx2 v[0:1], v[0:1]
	v_pk_mov_b32 v[2:3], s[16:17], s[16:17] op_sel:[0,1]
	s_cbranch_vccnz .LBB45_2
; %bb.1:
	v_pk_mov_b32 v[2:3], s[2:3], s[2:3] op_sel:[0,1]
	flat_load_dwordx2 v[2:3], v[2:3] offset:8
.LBB45_2:
	v_lshrrev_b32_e32 v5, 6, v4
	v_mov_b32_e32 v6, s0
	v_readfirstlane_b32 s15, v5
	s_lshl_b32 s0, s8, 4
	v_mov_b32_e32 v7, s1
	s_add_i32 s0, s15, s0
	s_mov_b32 s1, 0
	v_cmp_ge_i64_e32 vcc, s[0:1], v[6:7]
	s_cbranch_vccnz .LBB45_48
; %bb.3:
	s_load_dword s2, s[6:7], 0x58
	s_load_dwordx2 s[4:5], s[6:7], 0x50
	s_lshl_b64 s[0:1], s[0:1], 3
	v_and_b32_e32 v16, 63, v4
	v_pk_mov_b32 v[8:9], 0, 0
	s_waitcnt lgkmcnt(0)
	s_ashr_i32 s3, s2, 31
	s_add_u32 s4, s4, s0
	s_addc_u32 s5, s5, s1
	s_lshl_b64 s[0:1], s[2:3], 3
	s_add_u32 s0, s4, s0
	s_addc_u32 s1, s5, s1
	s_load_dwordx2 s[22:23], s[0:1], 0x0
	s_load_dwordx2 s[2:3], s[6:7], 0x18
	s_load_dwordx4 s[8:11], s[6:7], 0x40
	v_cmp_eq_u32_e32 vcc, 0, v16
	v_pk_mov_b32 v[4:5], v[8:9], v[8:9] op_sel:[0,1]
	s_waitcnt lgkmcnt(0)
	s_lshl_b64 s[20:21], s[22:23], 2
	s_add_u32 s0, s2, s20
	s_addc_u32 s1, s3, s21
	s_load_dwordx2 s[0:1], s[0:1], 0x0
	s_and_saveexec_b64 s[2:3], vcc
	s_cbranch_execz .LBB45_5
; %bb.4:
	s_load_dwordx4 s[16:19], s[6:7], 0x30
	s_waitcnt lgkmcnt(0)
	s_mul_i32 s5, s22, s19
	s_mul_hi_u32 s19, s22, s18
	s_mul_i32 s24, s23, s18
	s_add_i32 s5, s19, s5
	s_mul_i32 s4, s22, s18
	s_add_i32 s5, s5, s24
	s_lshl_b64 s[4:5], s[4:5], 4
	s_add_u32 s4, s16, s4
	s_addc_u32 s5, s17, s5
	s_load_dwordx4 s[16:19], s[4:5], 0x0
	s_waitcnt vmcnt(0) lgkmcnt(0)
	v_mul_f64 v[8:9], s[18:19], -v[2:3]
	v_mul_f64 v[4:5], v[0:1], s[18:19]
	v_fmac_f64_e32 v[8:9], s[16:17], v[0:1]
	v_fmac_f64_e32 v[4:5], s[16:17], v[2:3]
.LBB45_5:
	s_or_b64 exec, exec, s[2:3]
	s_waitcnt vmcnt(0)
	v_subrev_u32_e32 v0, s12, v16
	s_waitcnt lgkmcnt(0)
	s_sub_i32 s33, s1, s12
	v_add_u32_e32 v6, s0, v0
	v_cmp_gt_i32_e32 vcc, s33, v6
	s_and_saveexec_b64 s[24:25], vcc
	s_cbranch_execz .LBB45_45
; %bb.6:
	s_load_dwordx2 s[26:27], s[6:7], 0x60
	s_load_dwordx4 s[16:19], s[6:7], 0x20
	s_cmp_eq_u32 s14, 0
	s_cselect_b64 s[6:7], -1, 0
	s_mov_b32 s0, 0
	s_add_u32 s28, s22, s12
	v_cndmask_b32_e64 v0, 0, 1, s[6:7]
	s_mov_b32 s40, s12
	s_addc_u32 s29, s23, 0
	s_lshl_b32 s12, s15, 4
	s_mov_b64 s[30:31], 0
	s_waitcnt lgkmcnt(0)
	v_mov_b32_e32 v17, s17
	v_mov_b32_e32 v18, s0
	;; [unrolled: 1-line block ×4, first 2 shown]
	v_cmp_ne_u32_e64 s[0:1], 1, v0
	s_branch .LBB45_8
.LBB45_7:                               ;   in Loop: Header=BB45_8 Depth=1
	s_or_b64 exec, exec, s[34:35]
	s_and_b64 s[2:3], exec, s[2:3]
	s_or_b64 s[30:31], s[2:3], s[30:31]
	v_pk_mov_b32 v[4:5], v[12:13], v[12:13] op_sel:[0,1]
	v_pk_mov_b32 v[8:9], v[14:15], v[14:15] op_sel:[0,1]
	s_andn2_b64 exec, exec, s[30:31]
	s_cbranch_execz .LBB45_44
.LBB45_8:                               ; =>This Loop Header: Depth=1
                                        ;     Child Loop BB45_34 Depth 2
                                        ;       Child Loop BB45_35 Depth 3
	v_ashrrev_i32_e32 v7, 31, v6
	v_lshlrev_b64 v[0:1], 3, v[6:7]
	v_add_co_u32_e32 v0, vcc, s16, v0
	v_addc_co_u32_e32 v1, vcc, v17, v1, vcc
	global_load_dwordx2 v[10:11], v[0:1], off glc slc
	v_lshlrev_b64 v[0:1], 4, v[6:7]
	v_add_co_u32_e32 v0, vcc, s18, v0
	v_addc_co_u32_e32 v1, vcc, v19, v1, vcc
	global_load_dwordx4 v[0:3], v[0:1], off glc slc
	s_waitcnt vmcnt(1)
	v_subrev_co_u32_e32 v10, vcc, s40, v10
	v_subb_co_u32_e32 v11, vcc, v11, v18, vcc
	s_waitcnt vmcnt(0)
	v_cmp_eq_f64_e32 vcc, 0, v[0:1]
	v_cmp_eq_f64_e64 s[2:3], 0, v[2:3]
	s_and_b64 s[2:3], vcc, s[2:3]
	v_cmp_eq_u64_e32 vcc, s[22:23], v[10:11]
	s_and_b64 s[2:3], s[2:3], vcc
	s_and_b64 s[2:3], s[6:7], s[2:3]
	s_and_saveexec_b64 s[4:5], s[2:3]
	s_cbranch_execz .LBB45_12
; %bb.9:                                ;   in Loop: Header=BB45_8 Depth=1
	v_mbcnt_lo_u32_b32 v0, exec_lo, 0
	v_mbcnt_hi_u32_b32 v0, exec_hi, v0
	v_cmp_eq_u32_e64 s[2:3], 0, v0
	s_and_saveexec_b64 s[34:35], s[2:3]
	s_cbranch_execz .LBB45_11
; %bb.10:                               ;   in Loop: Header=BB45_8 Depth=1
	v_pk_mov_b32 v[0:1], s[28:29], s[28:29] op_sel:[0,1]
	global_atomic_umin_x2 v20, v[0:1], s[26:27]
.LBB45_11:                              ;   in Loop: Header=BB45_8 Depth=1
	s_or_b64 exec, exec, s[34:35]
	v_mov_b32_e32 v0, 0
	v_mov_b32_e32 v1, 0x3ff00000
	v_pk_mov_b32 v[2:3], 0, 0
.LBB45_12:                              ;   in Loop: Header=BB45_8 Depth=1
	s_or_b64 exec, exec, s[4:5]
	v_cmp_ne_u64_e64 s[2:3], s[22:23], v[10:11]
	s_cmp_lt_i32 s13, 1
	s_mov_b64 s[34:35], 0
	s_cbranch_scc1 .LBB45_21
; %bb.13:                               ;   in Loop: Header=BB45_8 Depth=1
	s_cmp_eq_u32 s13, 1
	s_cbranch_scc0 .LBB45_22
; %bb.14:                               ;   in Loop: Header=BB45_8 Depth=1
	v_cmp_le_i64_e64 s[4:5], s[22:23], v[10:11]
	s_mov_b64 s[36:37], 0
	s_and_saveexec_b64 s[38:39], s[4:5]
	s_cbranch_execz .LBB45_20
; %bb.15:                               ;   in Loop: Header=BB45_8 Depth=1
	s_mov_b64 s[36:37], -1
	s_and_saveexec_b64 s[4:5], vcc
	s_xor_b64 s[4:5], exec, s[4:5]
	s_cbranch_execz .LBB45_19
; %bb.16:                               ;   in Loop: Header=BB45_8 Depth=1
	s_and_b64 vcc, exec, s[0:1]
	s_cbranch_vccnz .LBB45_18
; %bb.17:                               ;   in Loop: Header=BB45_8 Depth=1
	v_mul_f64 v[12:13], v[2:3], v[2:3]
	v_fmac_f64_e32 v[12:13], v[0:1], v[0:1]
	v_div_scale_f64 v[14:15], s[36:37], v[12:13], v[12:13], 1.0
	v_rcp_f64_e32 v[22:23], v[14:15]
	v_div_scale_f64 v[24:25], vcc, 1.0, v[12:13], 1.0
	v_mov_b32_e32 v7, s12
	v_fma_f64 v[26:27], -v[14:15], v[22:23], 1.0
	v_fmac_f64_e32 v[22:23], v[22:23], v[26:27]
	v_fma_f64 v[26:27], -v[14:15], v[22:23], 1.0
	v_fmac_f64_e32 v[22:23], v[22:23], v[26:27]
	v_mul_f64 v[26:27], v[24:25], v[22:23]
	v_fma_f64 v[14:15], -v[14:15], v[26:27], v[24:25]
	v_div_fmas_f64 v[14:15], v[14:15], v[22:23], v[26:27]
	v_div_fixup_f64 v[14:15], v[14:15], v[12:13], 1.0
	v_fma_f64 v[12:13], 0, v[2:3], v[0:1]
	v_fma_f64 v[22:23], v[0:1], 0, -v[2:3]
	v_mul_f64 v[12:13], v[12:13], v[14:15]
	v_mul_f64 v[14:15], v[22:23], v[14:15]
	ds_write_b128 v7, v[12:15]
.LBB45_18:                              ;   in Loop: Header=BB45_8 Depth=1
	s_xor_b64 s[36:37], exec, -1
.LBB45_19:                              ;   in Loop: Header=BB45_8 Depth=1
	s_or_b64 exec, exec, s[4:5]
	s_and_b64 s[36:37], s[36:37], exec
.LBB45_20:                              ;   in Loop: Header=BB45_8 Depth=1
	s_or_b64 exec, exec, s[38:39]
	s_mov_b32 s17, 4
	v_pk_mov_b32 v[12:13], v[4:5], v[4:5] op_sel:[0,1]
	v_pk_mov_b32 v[14:15], v[8:9], v[8:9] op_sel:[0,1]
	s_branch .LBB45_23
.LBB45_21:                              ;   in Loop: Header=BB45_8 Depth=1
	s_mov_b64 s[36:37], 0
                                        ; implicit-def: $sgpr17
                                        ; implicit-def: $vgpr12_vgpr13
                                        ; implicit-def: $vgpr14_vgpr15
	s_cbranch_execnz .LBB45_24
	s_branch .LBB45_26
.LBB45_22:                              ;   in Loop: Header=BB45_8 Depth=1
	s_mov_b64 s[36:37], -1
                                        ; implicit-def: $sgpr17
                                        ; implicit-def: $vgpr12_vgpr13
                                        ; implicit-def: $vgpr14_vgpr15
.LBB45_23:                              ;   in Loop: Header=BB45_8 Depth=1
	s_branch .LBB45_26
.LBB45_24:                              ;   in Loop: Header=BB45_8 Depth=1
	s_cmp_eq_u32 s13, 0
	s_cbranch_scc1 .LBB45_28
; %bb.25:                               ;   in Loop: Header=BB45_8 Depth=1
	s_mov_b64 s[36:37], -1
                                        ; implicit-def: $sgpr17
                                        ; implicit-def: $vgpr12_vgpr13
                                        ; implicit-def: $vgpr14_vgpr15
.LBB45_26:                              ;   in Loop: Header=BB45_8 Depth=1
	v_mov_b32_e32 v7, s17
	s_and_saveexec_b64 s[2:3], s[36:37]
	s_cbranch_execnz .LBB45_31
.LBB45_27:                              ;   in Loop: Header=BB45_8 Depth=1
	s_or_b64 exec, exec, s[2:3]
	s_and_saveexec_b64 s[2:3], s[34:35]
	s_cbranch_execnz .LBB45_37
	s_branch .LBB45_40
.LBB45_28:                              ;   in Loop: Header=BB45_8 Depth=1
	v_cmp_ge_i64_e32 vcc, s[22:23], v[10:11]
	s_mov_b64 s[36:37], 0
	s_and_saveexec_b64 s[4:5], vcc
; %bb.29:                               ;   in Loop: Header=BB45_8 Depth=1
	s_mov_b64 s[34:35], exec
	s_and_b64 s[36:37], s[2:3], exec
; %bb.30:                               ;   in Loop: Header=BB45_8 Depth=1
	s_or_b64 exec, exec, s[4:5]
	s_mov_b32 s17, 2
	v_pk_mov_b32 v[12:13], v[4:5], v[4:5] op_sel:[0,1]
	v_pk_mov_b32 v[14:15], v[8:9], v[8:9] op_sel:[0,1]
	v_mov_b32_e32 v7, s17
	s_and_saveexec_b64 s[2:3], s[36:37]
	s_cbranch_execz .LBB45_27
.LBB45_31:                              ;   in Loop: Header=BB45_8 Depth=1
	v_lshlrev_b64 v[12:13], 2, v[10:11]
	v_mov_b32_e32 v7, s11
	v_add_co_u32_e32 v12, vcc, s10, v12
	v_addc_co_u32_e32 v13, vcc, v7, v13, vcc
	global_load_dword v7, v[12:13], off glc
	s_waitcnt vmcnt(0)
	v_cmp_eq_u32_e32 vcc, 0, v7
	s_and_saveexec_b64 s[4:5], vcc
	s_cbranch_execz .LBB45_36
; %bb.32:                               ;   in Loop: Header=BB45_8 Depth=1
	s_mov_b32 s17, 0
	s_mov_b64 s[36:37], 0
	s_branch .LBB45_34
.LBB45_33:                              ;   in Loop: Header=BB45_34 Depth=2
	global_load_dword v7, v[12:13], off glc
	s_cmpk_lt_u32 s17, 0xf43
	s_cselect_b64 s[38:39], -1, 0
	s_cmp_lg_u64 s[38:39], 0
	s_addc_u32 s17, s17, 0
	s_waitcnt vmcnt(0)
	v_cmp_ne_u32_e32 vcc, 0, v7
	s_or_b64 s[36:37], vcc, s[36:37]
	s_andn2_b64 exec, exec, s[36:37]
	s_cbranch_execz .LBB45_36
.LBB45_34:                              ;   Parent Loop BB45_8 Depth=1
                                        ; =>  This Loop Header: Depth=2
                                        ;       Child Loop BB45_35 Depth 3
	s_cmp_eq_u32 s17, 0
	s_mov_b32 s19, s17
	s_cbranch_scc1 .LBB45_33
.LBB45_35:                              ;   Parent Loop BB45_8 Depth=1
                                        ;     Parent Loop BB45_34 Depth=2
                                        ; =>    This Inner Loop Header: Depth=3
	s_add_i32 s19, s19, -1
	s_cmp_eq_u32 s19, 0
	s_sleep 1
	s_cbranch_scc0 .LBB45_35
	s_branch .LBB45_33
.LBB45_36:                              ;   in Loop: Header=BB45_8 Depth=1
	s_or_b64 exec, exec, s[4:5]
	v_lshlrev_b64 v[10:11], 4, v[10:11]
	v_mov_b32_e32 v7, s9
	v_add_co_u32_e32 v10, vcc, s8, v10
	v_addc_co_u32_e32 v11, vcc, v7, v11, vcc
	s_waitcnt lgkmcnt(0)
	buffer_wbinvl1_vol
	global_load_dwordx4 v[10:13], v[10:11], off
	v_mov_b32_e32 v7, 0
	s_andn2_b64 s[34:35], s[34:35], exec
	s_waitcnt vmcnt(0)
	v_fma_f64 v[14:15], -v[0:1], v[10:11], v[8:9]
	v_fma_f64 v[10:11], -v[2:3], v[10:11], v[4:5]
	v_fmac_f64_e32 v[14:15], v[2:3], v[12:13]
	v_fma_f64 v[12:13], -v[0:1], v[12:13], v[10:11]
	s_or_b64 exec, exec, s[2:3]
	s_and_saveexec_b64 s[2:3], s[34:35]
	s_cbranch_execz .LBB45_40
.LBB45_37:                              ;   in Loop: Header=BB45_8 Depth=1
	s_and_b64 vcc, exec, s[0:1]
	s_cbranch_vccnz .LBB45_39
; %bb.38:                               ;   in Loop: Header=BB45_8 Depth=1
	v_mul_f64 v[10:11], v[2:3], v[2:3]
	v_fmac_f64_e32 v[10:11], v[0:1], v[0:1]
	v_div_scale_f64 v[12:13], s[4:5], v[10:11], v[10:11], 1.0
	v_rcp_f64_e32 v[14:15], v[12:13]
	v_div_scale_f64 v[22:23], vcc, 1.0, v[10:11], 1.0
	v_fma_f64 v[24:25], -v[12:13], v[14:15], 1.0
	v_fmac_f64_e32 v[14:15], v[14:15], v[24:25]
	v_fma_f64 v[24:25], -v[12:13], v[14:15], 1.0
	v_fmac_f64_e32 v[14:15], v[14:15], v[24:25]
	v_mul_f64 v[24:25], v[22:23], v[14:15]
	v_fma_f64 v[12:13], -v[12:13], v[24:25], v[22:23]
	v_div_fmas_f64 v[12:13], v[12:13], v[14:15], v[24:25]
	v_div_fixup_f64 v[12:13], v[12:13], v[10:11], 1.0
	v_fma_f64 v[10:11], 0, v[2:3], v[0:1]
	v_fma_f64 v[0:1], v[0:1], 0, -v[2:3]
	v_mul_f64 v[10:11], v[10:11], v[12:13]
	v_mul_f64 v[12:13], v[0:1], v[12:13]
	v_mov_b32_e32 v0, s12
	ds_write_b128 v0, v[10:13]
.LBB45_39:                              ;   in Loop: Header=BB45_8 Depth=1
	v_mov_b32_e32 v7, 2
	v_pk_mov_b32 v[14:15], v[8:9], v[8:9] op_sel:[0,1]
	v_pk_mov_b32 v[12:13], v[4:5], v[4:5] op_sel:[0,1]
.LBB45_40:                              ;   in Loop: Header=BB45_8 Depth=1
	s_or_b64 exec, exec, s[2:3]
	v_cmp_gt_i32_e32 vcc, 4, v7
	s_mov_b64 s[2:3], -1
	s_mov_b64 s[4:5], -1
	s_and_saveexec_b64 s[34:35], vcc
; %bb.41:                               ;   in Loop: Header=BB45_8 Depth=1
	v_cmp_eq_u32_e32 vcc, 0, v7
	s_orn2_b64 s[4:5], vcc, exec
; %bb.42:                               ;   in Loop: Header=BB45_8 Depth=1
	s_or_b64 exec, exec, s[34:35]
	s_and_saveexec_b64 s[34:35], s[4:5]
	s_cbranch_execz .LBB45_7
; %bb.43:                               ;   in Loop: Header=BB45_8 Depth=1
	v_add_u32_e32 v6, 64, v6
	v_cmp_le_i32_e32 vcc, s33, v6
	s_orn2_b64 s[2:3], vcc, exec
	s_branch .LBB45_7
.LBB45_44:
	s_or_b64 exec, exec, s[30:31]
	v_pk_mov_b32 v[4:5], v[12:13], v[12:13] op_sel:[0,1]
	v_pk_mov_b32 v[8:9], v[14:15], v[14:15] op_sel:[0,1]
.LBB45_45:
	s_or_b64 exec, exec, s[24:25]
	s_nop 0
	v_mov_b32_dpp v0, v8 row_shr:1 row_mask:0xf bank_mask:0xf
	v_mov_b32_dpp v1, v9 row_shr:1 row_mask:0xf bank_mask:0xf
	v_add_f64 v[0:1], v[8:9], v[0:1]
	s_cmp_lg_u32 s14, 0
	s_nop 0
	v_mov_b32_dpp v2, v0 row_shr:2 row_mask:0xf bank_mask:0xf
	v_mov_b32_dpp v3, v1 row_shr:2 row_mask:0xf bank_mask:0xf
	v_add_f64 v[0:1], v[0:1], v[2:3]
	s_nop 1
	v_mov_b32_dpp v2, v0 row_shr:4 row_mask:0xf bank_mask:0xe
	v_mov_b32_dpp v3, v1 row_shr:4 row_mask:0xf bank_mask:0xe
	v_add_f64 v[0:1], v[0:1], v[2:3]
	;; [unrolled: 4-line block ×3, first 2 shown]
	s_nop 1
	v_mov_b32_dpp v2, v0 row_bcast:15 row_mask:0xa bank_mask:0xf
	v_mov_b32_dpp v3, v1 row_bcast:15 row_mask:0xa bank_mask:0xf
	v_add_f64 v[0:1], v[0:1], v[2:3]
	s_nop 1
	v_mov_b32_dpp v2, v0 row_bcast:31 row_mask:0xc bank_mask:0xf
	v_mov_b32_dpp v3, v1 row_bcast:31 row_mask:0xc bank_mask:0xf
	v_add_f64 v[0:1], v[0:1], v[2:3]
	v_mov_b32_dpp v2, v4 row_shr:1 row_mask:0xf bank_mask:0xf
	v_mov_b32_dpp v3, v5 row_shr:1 row_mask:0xf bank_mask:0xf
	v_add_f64 v[2:3], v[4:5], v[2:3]
	s_nop 1
	v_mov_b32_dpp v4, v2 row_shr:2 row_mask:0xf bank_mask:0xf
	v_mov_b32_dpp v5, v3 row_shr:2 row_mask:0xf bank_mask:0xf
	v_add_f64 v[2:3], v[2:3], v[4:5]
	s_nop 1
	;; [unrolled: 4-line block ×4, first 2 shown]
	v_mov_b32_dpp v4, v2 row_bcast:15 row_mask:0xa bank_mask:0xf
	v_mov_b32_dpp v5, v3 row_bcast:15 row_mask:0xa bank_mask:0xf
	v_add_f64 v[2:3], v[2:3], v[4:5]
	s_nop 1
	v_mov_b32_dpp v4, v2 row_bcast:31 row_mask:0xc bank_mask:0xf
	v_mov_b32_dpp v5, v3 row_bcast:31 row_mask:0xc bank_mask:0xf
	v_add_f64 v[2:3], v[2:3], v[4:5]
	s_cbranch_scc0 .LBB45_49
; %bb.46:
	v_cmp_eq_u32_e32 vcc, 63, v16
	s_and_saveexec_b64 s[0:1], vcc
	s_cbranch_execz .LBB45_48
.LBB45_47:
	s_lshl_b64 s[0:1], s[22:23], 4
	s_add_u32 s0, s8, s0
	s_addc_u32 s1, s9, s1
	v_mov_b32_e32 v4, 0
	s_add_u32 s2, s10, s20
	s_addc_u32 s3, s11, s21
	global_store_dwordx4 v4, v[0:3], s[0:1] glc slc
	s_nop 0
	v_mov_b32_e32 v0, 1
	s_waitcnt vmcnt(0)
	global_store_dword v4, v0, s[2:3]
.LBB45_48:
	s_endpgm
.LBB45_49:
	s_lshl_b32 s0, s15, 4
	v_mov_b32_e32 v4, s0
	s_waitcnt lgkmcnt(0)
	ds_read_b128 v[4:7], v4
	s_waitcnt lgkmcnt(0)
	v_mul_f64 v[8:9], v[6:7], -v[2:3]
	v_mul_f64 v[6:7], v[0:1], v[6:7]
	v_fmac_f64_e32 v[8:9], v[0:1], v[4:5]
	v_fmac_f64_e32 v[6:7], v[2:3], v[4:5]
	v_pk_mov_b32 v[0:1], v[8:9], v[8:9] op_sel:[0,1]
	v_pk_mov_b32 v[2:3], v[6:7], v[6:7] op_sel:[0,1]
	v_cmp_eq_u32_e32 vcc, 63, v16
	s_and_saveexec_b64 s[0:1], vcc
	s_cbranch_execnz .LBB45_47
	s_branch .LBB45_48
	.section	.rodata,"a",@progbits
	.p2align	6, 0x0
	.amdhsa_kernel _ZN9rocsparseL12csrsv_kernelILj1024ELj64ELb1Eil21rocsparse_complex_numIdEEEvT3_NS_24const_host_device_scalarIT4_EEPKT2_PKS3_PKS5_SD_lPS5_PiSB_iPS3_21rocsparse_index_base_20rocsparse_fill_mode_20rocsparse_diag_type_b
		.amdhsa_group_segment_fixed_size 8448
		.amdhsa_private_segment_fixed_size 0
		.amdhsa_kernarg_size 120
		.amdhsa_user_sgpr_count 8
		.amdhsa_user_sgpr_private_segment_buffer 1
		.amdhsa_user_sgpr_dispatch_ptr 1
		.amdhsa_user_sgpr_queue_ptr 0
		.amdhsa_user_sgpr_kernarg_segment_ptr 1
		.amdhsa_user_sgpr_dispatch_id 0
		.amdhsa_user_sgpr_flat_scratch_init 0
		.amdhsa_user_sgpr_kernarg_preload_length 0
		.amdhsa_user_sgpr_kernarg_preload_offset 0
		.amdhsa_user_sgpr_private_segment_size 0
		.amdhsa_uses_dynamic_stack 0
		.amdhsa_system_sgpr_private_segment_wavefront_offset 0
		.amdhsa_system_sgpr_workgroup_id_x 1
		.amdhsa_system_sgpr_workgroup_id_y 0
		.amdhsa_system_sgpr_workgroup_id_z 0
		.amdhsa_system_sgpr_workgroup_info 0
		.amdhsa_system_vgpr_workitem_id 2
		.amdhsa_next_free_vgpr 28
		.amdhsa_next_free_sgpr 41
		.amdhsa_accum_offset 28
		.amdhsa_reserve_vcc 1
		.amdhsa_reserve_flat_scratch 0
		.amdhsa_float_round_mode_32 0
		.amdhsa_float_round_mode_16_64 0
		.amdhsa_float_denorm_mode_32 3
		.amdhsa_float_denorm_mode_16_64 3
		.amdhsa_dx10_clamp 1
		.amdhsa_ieee_mode 1
		.amdhsa_fp16_overflow 0
		.amdhsa_tg_split 0
		.amdhsa_exception_fp_ieee_invalid_op 0
		.amdhsa_exception_fp_denorm_src 0
		.amdhsa_exception_fp_ieee_div_zero 0
		.amdhsa_exception_fp_ieee_overflow 0
		.amdhsa_exception_fp_ieee_underflow 0
		.amdhsa_exception_fp_ieee_inexact 0
		.amdhsa_exception_int_div_zero 0
	.end_amdhsa_kernel
	.section	.text._ZN9rocsparseL12csrsv_kernelILj1024ELj64ELb1Eil21rocsparse_complex_numIdEEEvT3_NS_24const_host_device_scalarIT4_EEPKT2_PKS3_PKS5_SD_lPS5_PiSB_iPS3_21rocsparse_index_base_20rocsparse_fill_mode_20rocsparse_diag_type_b,"axG",@progbits,_ZN9rocsparseL12csrsv_kernelILj1024ELj64ELb1Eil21rocsparse_complex_numIdEEEvT3_NS_24const_host_device_scalarIT4_EEPKT2_PKS3_PKS5_SD_lPS5_PiSB_iPS3_21rocsparse_index_base_20rocsparse_fill_mode_20rocsparse_diag_type_b,comdat
.Lfunc_end45:
	.size	_ZN9rocsparseL12csrsv_kernelILj1024ELj64ELb1Eil21rocsparse_complex_numIdEEEvT3_NS_24const_host_device_scalarIT4_EEPKT2_PKS3_PKS5_SD_lPS5_PiSB_iPS3_21rocsparse_index_base_20rocsparse_fill_mode_20rocsparse_diag_type_b, .Lfunc_end45-_ZN9rocsparseL12csrsv_kernelILj1024ELj64ELb1Eil21rocsparse_complex_numIdEEEvT3_NS_24const_host_device_scalarIT4_EEPKT2_PKS3_PKS5_SD_lPS5_PiSB_iPS3_21rocsparse_index_base_20rocsparse_fill_mode_20rocsparse_diag_type_b
                                        ; -- End function
	.section	.AMDGPU.csdata,"",@progbits
; Kernel info:
; codeLenInByte = 2088
; NumSgprs: 45
; NumVgprs: 28
; NumAgprs: 0
; TotalNumVgprs: 28
; ScratchSize: 0
; MemoryBound: 0
; FloatMode: 240
; IeeeMode: 1
; LDSByteSize: 8448 bytes/workgroup (compile time only)
; SGPRBlocks: 5
; VGPRBlocks: 3
; NumSGPRsForWavesPerEU: 45
; NumVGPRsForWavesPerEU: 28
; AccumOffset: 28
; Occupancy: 8
; WaveLimiterHint : 1
; COMPUTE_PGM_RSRC2:SCRATCH_EN: 0
; COMPUTE_PGM_RSRC2:USER_SGPR: 8
; COMPUTE_PGM_RSRC2:TRAP_HANDLER: 0
; COMPUTE_PGM_RSRC2:TGID_X_EN: 1
; COMPUTE_PGM_RSRC2:TGID_Y_EN: 0
; COMPUTE_PGM_RSRC2:TGID_Z_EN: 0
; COMPUTE_PGM_RSRC2:TIDIG_COMP_CNT: 2
; COMPUTE_PGM_RSRC3_GFX90A:ACCUM_OFFSET: 6
; COMPUTE_PGM_RSRC3_GFX90A:TG_SPLIT: 0
	.section	.text._ZN9rocsparseL12csrsv_kernelILj1024ELj32ELb0Eil21rocsparse_complex_numIdEEEvT3_NS_24const_host_device_scalarIT4_EEPKT2_PKS3_PKS5_SD_lPS5_PiSB_iPS3_21rocsparse_index_base_20rocsparse_fill_mode_20rocsparse_diag_type_b,"axG",@progbits,_ZN9rocsparseL12csrsv_kernelILj1024ELj32ELb0Eil21rocsparse_complex_numIdEEEvT3_NS_24const_host_device_scalarIT4_EEPKT2_PKS3_PKS5_SD_lPS5_PiSB_iPS3_21rocsparse_index_base_20rocsparse_fill_mode_20rocsparse_diag_type_b,comdat
	.globl	_ZN9rocsparseL12csrsv_kernelILj1024ELj32ELb0Eil21rocsparse_complex_numIdEEEvT3_NS_24const_host_device_scalarIT4_EEPKT2_PKS3_PKS5_SD_lPS5_PiSB_iPS3_21rocsparse_index_base_20rocsparse_fill_mode_20rocsparse_diag_type_b ; -- Begin function _ZN9rocsparseL12csrsv_kernelILj1024ELj32ELb0Eil21rocsparse_complex_numIdEEEvT3_NS_24const_host_device_scalarIT4_EEPKT2_PKS3_PKS5_SD_lPS5_PiSB_iPS3_21rocsparse_index_base_20rocsparse_fill_mode_20rocsparse_diag_type_b
	.p2align	8
	.type	_ZN9rocsparseL12csrsv_kernelILj1024ELj32ELb0Eil21rocsparse_complex_numIdEEEvT3_NS_24const_host_device_scalarIT4_EEPKT2_PKS3_PKS5_SD_lPS5_PiSB_iPS3_21rocsparse_index_base_20rocsparse_fill_mode_20rocsparse_diag_type_b,@function
_ZN9rocsparseL12csrsv_kernelILj1024ELj32ELb0Eil21rocsparse_complex_numIdEEEvT3_NS_24const_host_device_scalarIT4_EEPKT2_PKS3_PKS5_SD_lPS5_PiSB_iPS3_21rocsparse_index_base_20rocsparse_fill_mode_20rocsparse_diag_type_b: ; @_ZN9rocsparseL12csrsv_kernelILj1024ELj32ELb0Eil21rocsparse_complex_numIdEEEvT3_NS_24const_host_device_scalarIT4_EEPKT2_PKS3_PKS5_SD_lPS5_PiSB_iPS3_21rocsparse_index_base_20rocsparse_fill_mode_20rocsparse_diag_type_b
; %bb.0:
	s_load_dwordx4 s[12:15], s[6:7], 0x68
	s_load_dwordx2 s[10:11], s[4:5], 0x4
	s_load_dwordx4 s[0:3], s[6:7], 0x0
	s_load_dwordx2 s[16:17], s[6:7], 0x10
	v_and_b32_e32 v4, 0x3ff, v0
	v_bfe_u32 v2, v0, 10, 10
	s_waitcnt lgkmcnt(0)
	s_lshr_b32 s5, s10, 16
	s_mul_i32 s5, s5, s11
	v_mul_lo_u32 v1, s5, v4
	s_and_b32 s4, 1, s15
	v_mad_u32_u24 v1, v2, s11, v1
	v_bfe_u32 v0, v0, 20, 10
	s_cmp_eq_u32 s4, 1
	v_add_lshl_u32 v2, v1, v0, 3
	v_add_u32_e32 v3, 0x200, v2
	v_pk_mov_b32 v[0:1], s[2:3], s[2:3] op_sel:[0,1]
	s_cselect_b64 vcc, -1, 0
	ds_write_b64 v2, v[0:1] offset:512
	s_mov_b64 s[4:5], src_shared_base
	v_cndmask_b32_e32 v0, v0, v3, vcc
	s_and_b64 vcc, vcc, exec
	s_cselect_b32 s4, s5, s3
	v_mov_b32_e32 v1, s4
	flat_load_dwordx2 v[0:1], v[0:1]
	v_pk_mov_b32 v[2:3], s[16:17], s[16:17] op_sel:[0,1]
	s_cbranch_vccnz .LBB46_2
; %bb.1:
	v_pk_mov_b32 v[2:3], s[2:3], s[2:3] op_sel:[0,1]
	flat_load_dwordx2 v[2:3], v[2:3] offset:8
.LBB46_2:
	v_lshrrev_b32_e32 v5, 5, v4
	v_mov_b32_e32 v6, s0
	v_readfirstlane_b32 s15, v5
	s_lshl_b32 s0, s8, 5
	v_mov_b32_e32 v7, s1
	s_add_i32 s0, s15, s0
	s_mov_b32 s1, 0
	v_cmp_ge_i64_e32 vcc, s[0:1], v[6:7]
	s_cbranch_vccnz .LBB46_46
; %bb.3:
	s_load_dword s2, s[6:7], 0x58
	s_load_dwordx2 s[4:5], s[6:7], 0x50
	s_lshl_b64 s[0:1], s[0:1], 3
	v_and_b32_e32 v16, 31, v4
	v_pk_mov_b32 v[8:9], 0, 0
	s_waitcnt lgkmcnt(0)
	s_ashr_i32 s3, s2, 31
	s_add_u32 s4, s4, s0
	s_addc_u32 s5, s5, s1
	s_lshl_b64 s[0:1], s[2:3], 3
	s_add_u32 s0, s4, s0
	s_addc_u32 s1, s5, s1
	s_load_dwordx2 s[22:23], s[0:1], 0x0
	s_load_dwordx2 s[2:3], s[6:7], 0x18
	s_load_dwordx4 s[8:11], s[6:7], 0x40
	v_cmp_eq_u32_e32 vcc, 0, v16
	v_pk_mov_b32 v[6:7], v[8:9], v[8:9] op_sel:[0,1]
	s_waitcnt lgkmcnt(0)
	s_lshl_b64 s[20:21], s[22:23], 2
	s_add_u32 s0, s2, s20
	s_addc_u32 s1, s3, s21
	s_load_dwordx2 s[0:1], s[0:1], 0x0
	s_and_saveexec_b64 s[2:3], vcc
	s_cbranch_execz .LBB46_5
; %bb.4:
	s_load_dwordx4 s[16:19], s[6:7], 0x30
	s_waitcnt lgkmcnt(0)
	s_mul_i32 s5, s22, s19
	s_mul_hi_u32 s19, s22, s18
	s_mul_i32 s24, s23, s18
	s_add_i32 s5, s19, s5
	s_mul_i32 s4, s22, s18
	s_add_i32 s5, s5, s24
	s_lshl_b64 s[4:5], s[4:5], 4
	s_add_u32 s4, s16, s4
	s_addc_u32 s5, s17, s5
	s_load_dwordx4 s[16:19], s[4:5], 0x0
	s_waitcnt vmcnt(0) lgkmcnt(0)
	v_mul_f64 v[8:9], s[18:19], -v[2:3]
	v_mul_f64 v[6:7], v[0:1], s[18:19]
	v_fmac_f64_e32 v[8:9], s[16:17], v[0:1]
	v_fmac_f64_e32 v[6:7], s[16:17], v[2:3]
.LBB46_5:
	s_or_b64 exec, exec, s[2:3]
	s_waitcnt vmcnt(0)
	v_subrev_u32_e32 v0, s12, v16
	s_waitcnt lgkmcnt(0)
	s_sub_i32 s33, s1, s12
	v_add_u32_e32 v4, s0, v0
	v_cmp_gt_i32_e32 vcc, s33, v4
	s_and_saveexec_b64 s[24:25], vcc
	s_cbranch_execz .LBB46_43
; %bb.6:
	s_load_dwordx2 s[26:27], s[6:7], 0x60
	s_load_dwordx4 s[16:19], s[6:7], 0x20
	s_cmp_eq_u32 s14, 0
	s_cselect_b64 s[6:7], -1, 0
	s_mov_b32 s0, 0
	s_add_u32 s28, s22, s12
	v_cndmask_b32_e64 v0, 0, 1, s[6:7]
	s_mov_b32 s40, s12
	s_addc_u32 s29, s23, 0
	s_lshl_b32 s12, s15, 4
	s_mov_b64 s[30:31], 0
	s_waitcnt lgkmcnt(0)
	v_mov_b32_e32 v17, s17
	v_mov_b32_e32 v18, s0
	;; [unrolled: 1-line block ×4, first 2 shown]
	v_cmp_ne_u32_e64 s[0:1], 1, v0
	s_branch .LBB46_8
.LBB46_7:                               ;   in Loop: Header=BB46_8 Depth=1
	s_or_b64 exec, exec, s[34:35]
	s_and_b64 s[2:3], exec, s[2:3]
	s_or_b64 s[30:31], s[2:3], s[30:31]
	v_pk_mov_b32 v[6:7], v[12:13], v[12:13] op_sel:[0,1]
	v_pk_mov_b32 v[8:9], v[14:15], v[14:15] op_sel:[0,1]
	s_andn2_b64 exec, exec, s[30:31]
	s_cbranch_execz .LBB46_42
.LBB46_8:                               ; =>This Loop Header: Depth=1
                                        ;     Child Loop BB46_33 Depth 2
	v_ashrrev_i32_e32 v5, 31, v4
	v_lshlrev_b64 v[0:1], 3, v[4:5]
	v_add_co_u32_e32 v0, vcc, s16, v0
	v_addc_co_u32_e32 v1, vcc, v17, v1, vcc
	global_load_dwordx2 v[10:11], v[0:1], off glc slc
	v_lshlrev_b64 v[0:1], 4, v[4:5]
	v_add_co_u32_e32 v0, vcc, s18, v0
	v_addc_co_u32_e32 v1, vcc, v19, v1, vcc
	global_load_dwordx4 v[0:3], v[0:1], off glc slc
	s_waitcnt vmcnt(1)
	v_subrev_co_u32_e32 v10, vcc, s40, v10
	v_subb_co_u32_e32 v11, vcc, v11, v18, vcc
	s_waitcnt vmcnt(0)
	v_cmp_eq_f64_e32 vcc, 0, v[0:1]
	v_cmp_eq_f64_e64 s[2:3], 0, v[2:3]
	s_and_b64 s[2:3], vcc, s[2:3]
	v_cmp_eq_u64_e32 vcc, s[22:23], v[10:11]
	s_and_b64 s[2:3], s[2:3], vcc
	s_and_b64 s[2:3], s[6:7], s[2:3]
	s_and_saveexec_b64 s[4:5], s[2:3]
	s_cbranch_execz .LBB46_12
; %bb.9:                                ;   in Loop: Header=BB46_8 Depth=1
	v_mbcnt_lo_u32_b32 v0, exec_lo, 0
	v_mbcnt_hi_u32_b32 v0, exec_hi, v0
	v_cmp_eq_u32_e64 s[2:3], 0, v0
	s_and_saveexec_b64 s[34:35], s[2:3]
	s_cbranch_execz .LBB46_11
; %bb.10:                               ;   in Loop: Header=BB46_8 Depth=1
	v_pk_mov_b32 v[0:1], s[28:29], s[28:29] op_sel:[0,1]
	global_atomic_umin_x2 v20, v[0:1], s[26:27]
.LBB46_11:                              ;   in Loop: Header=BB46_8 Depth=1
	s_or_b64 exec, exec, s[34:35]
	v_mov_b32_e32 v0, 0
	v_mov_b32_e32 v1, 0x3ff00000
	v_pk_mov_b32 v[2:3], 0, 0
.LBB46_12:                              ;   in Loop: Header=BB46_8 Depth=1
	s_or_b64 exec, exec, s[4:5]
	v_cmp_ne_u64_e64 s[2:3], s[22:23], v[10:11]
	s_cmp_lt_i32 s13, 1
	s_mov_b64 s[34:35], 0
	s_cbranch_scc1 .LBB46_21
; %bb.13:                               ;   in Loop: Header=BB46_8 Depth=1
	s_cmp_eq_u32 s13, 1
	s_cbranch_scc0 .LBB46_22
; %bb.14:                               ;   in Loop: Header=BB46_8 Depth=1
	v_cmp_le_i64_e64 s[4:5], s[22:23], v[10:11]
	s_mov_b64 s[36:37], 0
	s_and_saveexec_b64 s[38:39], s[4:5]
	s_cbranch_execz .LBB46_20
; %bb.15:                               ;   in Loop: Header=BB46_8 Depth=1
	s_mov_b64 s[36:37], -1
	s_and_saveexec_b64 s[4:5], vcc
	s_xor_b64 s[4:5], exec, s[4:5]
	s_cbranch_execz .LBB46_19
; %bb.16:                               ;   in Loop: Header=BB46_8 Depth=1
	s_and_b64 vcc, exec, s[0:1]
	s_cbranch_vccnz .LBB46_18
; %bb.17:                               ;   in Loop: Header=BB46_8 Depth=1
	v_mul_f64 v[12:13], v[2:3], v[2:3]
	v_fmac_f64_e32 v[12:13], v[0:1], v[0:1]
	v_div_scale_f64 v[14:15], s[36:37], v[12:13], v[12:13], 1.0
	v_rcp_f64_e32 v[22:23], v[14:15]
	v_div_scale_f64 v[24:25], vcc, 1.0, v[12:13], 1.0
	v_mov_b32_e32 v5, s12
	v_fma_f64 v[26:27], -v[14:15], v[22:23], 1.0
	v_fmac_f64_e32 v[22:23], v[22:23], v[26:27]
	v_fma_f64 v[26:27], -v[14:15], v[22:23], 1.0
	v_fmac_f64_e32 v[22:23], v[22:23], v[26:27]
	v_mul_f64 v[26:27], v[24:25], v[22:23]
	v_fma_f64 v[14:15], -v[14:15], v[26:27], v[24:25]
	v_div_fmas_f64 v[14:15], v[14:15], v[22:23], v[26:27]
	v_div_fixup_f64 v[14:15], v[14:15], v[12:13], 1.0
	v_fma_f64 v[12:13], 0, v[2:3], v[0:1]
	v_fma_f64 v[22:23], v[0:1], 0, -v[2:3]
	v_mul_f64 v[12:13], v[12:13], v[14:15]
	v_mul_f64 v[14:15], v[22:23], v[14:15]
	ds_write_b128 v5, v[12:15]
.LBB46_18:                              ;   in Loop: Header=BB46_8 Depth=1
	s_xor_b64 s[36:37], exec, -1
.LBB46_19:                              ;   in Loop: Header=BB46_8 Depth=1
	s_or_b64 exec, exec, s[4:5]
	s_and_b64 s[36:37], s[36:37], exec
.LBB46_20:                              ;   in Loop: Header=BB46_8 Depth=1
	s_or_b64 exec, exec, s[38:39]
	s_mov_b32 s17, 4
	v_pk_mov_b32 v[12:13], v[6:7], v[6:7] op_sel:[0,1]
	v_pk_mov_b32 v[14:15], v[8:9], v[8:9] op_sel:[0,1]
	s_branch .LBB46_23
.LBB46_21:                              ;   in Loop: Header=BB46_8 Depth=1
	s_mov_b64 s[36:37], 0
                                        ; implicit-def: $sgpr17
                                        ; implicit-def: $vgpr12_vgpr13
                                        ; implicit-def: $vgpr14_vgpr15
	s_cbranch_execnz .LBB46_24
	s_branch .LBB46_26
.LBB46_22:                              ;   in Loop: Header=BB46_8 Depth=1
	s_mov_b64 s[36:37], -1
                                        ; implicit-def: $sgpr17
                                        ; implicit-def: $vgpr12_vgpr13
                                        ; implicit-def: $vgpr14_vgpr15
.LBB46_23:                              ;   in Loop: Header=BB46_8 Depth=1
	s_branch .LBB46_26
.LBB46_24:                              ;   in Loop: Header=BB46_8 Depth=1
	s_cmp_eq_u32 s13, 0
	s_cbranch_scc1 .LBB46_28
; %bb.25:                               ;   in Loop: Header=BB46_8 Depth=1
	s_mov_b64 s[36:37], -1
                                        ; implicit-def: $sgpr17
                                        ; implicit-def: $vgpr12_vgpr13
                                        ; implicit-def: $vgpr14_vgpr15
.LBB46_26:                              ;   in Loop: Header=BB46_8 Depth=1
	v_mov_b32_e32 v5, s17
	s_and_saveexec_b64 s[2:3], s[36:37]
	s_cbranch_execnz .LBB46_31
.LBB46_27:                              ;   in Loop: Header=BB46_8 Depth=1
	s_or_b64 exec, exec, s[2:3]
	s_and_saveexec_b64 s[2:3], s[34:35]
	s_cbranch_execnz .LBB46_35
	s_branch .LBB46_38
.LBB46_28:                              ;   in Loop: Header=BB46_8 Depth=1
	v_cmp_ge_i64_e32 vcc, s[22:23], v[10:11]
	s_mov_b64 s[36:37], 0
	s_and_saveexec_b64 s[4:5], vcc
; %bb.29:                               ;   in Loop: Header=BB46_8 Depth=1
	s_mov_b64 s[34:35], exec
	s_and_b64 s[36:37], s[2:3], exec
; %bb.30:                               ;   in Loop: Header=BB46_8 Depth=1
	s_or_b64 exec, exec, s[4:5]
	s_mov_b32 s17, 2
	v_pk_mov_b32 v[12:13], v[6:7], v[6:7] op_sel:[0,1]
	v_pk_mov_b32 v[14:15], v[8:9], v[8:9] op_sel:[0,1]
	v_mov_b32_e32 v5, s17
	s_and_saveexec_b64 s[2:3], s[36:37]
	s_cbranch_execz .LBB46_27
.LBB46_31:                              ;   in Loop: Header=BB46_8 Depth=1
	v_lshlrev_b64 v[12:13], 2, v[10:11]
	v_mov_b32_e32 v5, s11
	v_add_co_u32_e32 v12, vcc, s10, v12
	v_addc_co_u32_e32 v13, vcc, v5, v13, vcc
	global_load_dword v5, v[12:13], off glc
	s_waitcnt vmcnt(0)
	v_cmp_eq_u32_e32 vcc, 0, v5
	s_and_saveexec_b64 s[4:5], vcc
	s_cbranch_execz .LBB46_34
; %bb.32:                               ;   in Loop: Header=BB46_8 Depth=1
	s_mov_b64 s[36:37], 0
.LBB46_33:                              ;   Parent Loop BB46_8 Depth=1
                                        ; =>  This Inner Loop Header: Depth=2
	global_load_dword v5, v[12:13], off glc
	s_waitcnt vmcnt(0)
	v_cmp_ne_u32_e32 vcc, 0, v5
	s_or_b64 s[36:37], vcc, s[36:37]
	s_andn2_b64 exec, exec, s[36:37]
	s_cbranch_execnz .LBB46_33
.LBB46_34:                              ;   in Loop: Header=BB46_8 Depth=1
	s_or_b64 exec, exec, s[4:5]
	v_lshlrev_b64 v[10:11], 4, v[10:11]
	v_mov_b32_e32 v5, s9
	v_add_co_u32_e32 v10, vcc, s8, v10
	v_addc_co_u32_e32 v11, vcc, v5, v11, vcc
	s_waitcnt lgkmcnt(0)
	buffer_wbinvl1_vol
	global_load_dwordx4 v[10:13], v[10:11], off
	v_mov_b32_e32 v5, 0
	s_andn2_b64 s[34:35], s[34:35], exec
	s_waitcnt vmcnt(0)
	v_fma_f64 v[14:15], -v[0:1], v[10:11], v[8:9]
	v_fma_f64 v[10:11], -v[2:3], v[10:11], v[6:7]
	v_fmac_f64_e32 v[14:15], v[2:3], v[12:13]
	v_fma_f64 v[12:13], -v[0:1], v[12:13], v[10:11]
	s_or_b64 exec, exec, s[2:3]
	s_and_saveexec_b64 s[2:3], s[34:35]
	s_cbranch_execz .LBB46_38
.LBB46_35:                              ;   in Loop: Header=BB46_8 Depth=1
	s_and_b64 vcc, exec, s[0:1]
	s_cbranch_vccnz .LBB46_37
; %bb.36:                               ;   in Loop: Header=BB46_8 Depth=1
	v_mul_f64 v[10:11], v[2:3], v[2:3]
	v_fmac_f64_e32 v[10:11], v[0:1], v[0:1]
	v_div_scale_f64 v[12:13], s[4:5], v[10:11], v[10:11], 1.0
	v_rcp_f64_e32 v[14:15], v[12:13]
	v_div_scale_f64 v[22:23], vcc, 1.0, v[10:11], 1.0
	v_fma_f64 v[24:25], -v[12:13], v[14:15], 1.0
	v_fmac_f64_e32 v[14:15], v[14:15], v[24:25]
	v_fma_f64 v[24:25], -v[12:13], v[14:15], 1.0
	v_fmac_f64_e32 v[14:15], v[14:15], v[24:25]
	v_mul_f64 v[24:25], v[22:23], v[14:15]
	v_fma_f64 v[12:13], -v[12:13], v[24:25], v[22:23]
	v_div_fmas_f64 v[12:13], v[12:13], v[14:15], v[24:25]
	v_div_fixup_f64 v[12:13], v[12:13], v[10:11], 1.0
	v_fma_f64 v[10:11], 0, v[2:3], v[0:1]
	v_fma_f64 v[0:1], v[0:1], 0, -v[2:3]
	v_mul_f64 v[10:11], v[10:11], v[12:13]
	v_mul_f64 v[12:13], v[0:1], v[12:13]
	v_mov_b32_e32 v0, s12
	ds_write_b128 v0, v[10:13]
.LBB46_37:                              ;   in Loop: Header=BB46_8 Depth=1
	v_mov_b32_e32 v5, 2
	v_pk_mov_b32 v[14:15], v[8:9], v[8:9] op_sel:[0,1]
	v_pk_mov_b32 v[12:13], v[6:7], v[6:7] op_sel:[0,1]
.LBB46_38:                              ;   in Loop: Header=BB46_8 Depth=1
	s_or_b64 exec, exec, s[2:3]
	v_cmp_gt_i32_e32 vcc, 4, v5
	s_mov_b64 s[2:3], -1
	s_mov_b64 s[4:5], -1
	s_and_saveexec_b64 s[34:35], vcc
; %bb.39:                               ;   in Loop: Header=BB46_8 Depth=1
	v_cmp_eq_u32_e32 vcc, 0, v5
	s_orn2_b64 s[4:5], vcc, exec
; %bb.40:                               ;   in Loop: Header=BB46_8 Depth=1
	s_or_b64 exec, exec, s[34:35]
	s_and_saveexec_b64 s[34:35], s[4:5]
	s_cbranch_execz .LBB46_7
; %bb.41:                               ;   in Loop: Header=BB46_8 Depth=1
	v_add_u32_e32 v4, 32, v4
	v_cmp_le_i32_e32 vcc, s33, v4
	s_orn2_b64 s[2:3], vcc, exec
	s_branch .LBB46_7
.LBB46_42:
	s_or_b64 exec, exec, s[30:31]
	v_pk_mov_b32 v[6:7], v[12:13], v[12:13] op_sel:[0,1]
	v_pk_mov_b32 v[8:9], v[14:15], v[14:15] op_sel:[0,1]
.LBB46_43:
	s_or_b64 exec, exec, s[24:25]
	s_nop 0
	v_mov_b32_dpp v0, v8 row_shr:1 row_mask:0xf bank_mask:0xf
	v_mov_b32_dpp v1, v9 row_shr:1 row_mask:0xf bank_mask:0xf
	v_add_f64 v[0:1], v[8:9], v[0:1]
	s_cmp_lg_u32 s14, 0
	s_nop 0
	v_mov_b32_dpp v2, v0 row_shr:2 row_mask:0xf bank_mask:0xf
	v_mov_b32_dpp v3, v1 row_shr:2 row_mask:0xf bank_mask:0xf
	v_add_f64 v[0:1], v[0:1], v[2:3]
	s_nop 1
	v_mov_b32_dpp v2, v0 row_shr:4 row_mask:0xf bank_mask:0xe
	v_mov_b32_dpp v3, v1 row_shr:4 row_mask:0xf bank_mask:0xe
	v_add_f64 v[0:1], v[0:1], v[2:3]
	s_nop 1
	v_mov_b32_dpp v2, v0 row_shr:8 row_mask:0xf bank_mask:0xc
	v_mov_b32_dpp v3, v1 row_shr:8 row_mask:0xf bank_mask:0xc
	v_add_f64 v[0:1], v[0:1], v[2:3]
	s_nop 1
	v_mov_b32_dpp v2, v0 row_bcast:15 row_mask:0xa bank_mask:0xf
	v_mov_b32_dpp v3, v1 row_bcast:15 row_mask:0xa bank_mask:0xf
	v_add_f64 v[0:1], v[0:1], v[2:3]
	v_mov_b32_dpp v2, v6 row_shr:1 row_mask:0xf bank_mask:0xf
	v_mov_b32_dpp v3, v7 row_shr:1 row_mask:0xf bank_mask:0xf
	v_add_f64 v[2:3], v[6:7], v[2:3]
	s_nop 1
	v_mov_b32_dpp v4, v2 row_shr:2 row_mask:0xf bank_mask:0xf
	v_mov_b32_dpp v5, v3 row_shr:2 row_mask:0xf bank_mask:0xf
	v_add_f64 v[2:3], v[2:3], v[4:5]
	s_nop 1
	v_mov_b32_dpp v4, v2 row_shr:4 row_mask:0xf bank_mask:0xe
	v_mov_b32_dpp v5, v3 row_shr:4 row_mask:0xf bank_mask:0xe
	v_add_f64 v[2:3], v[2:3], v[4:5]
	s_nop 1
	v_mov_b32_dpp v4, v2 row_shr:8 row_mask:0xf bank_mask:0xc
	v_mov_b32_dpp v5, v3 row_shr:8 row_mask:0xf bank_mask:0xc
	v_add_f64 v[2:3], v[2:3], v[4:5]
	s_nop 1
	v_mov_b32_dpp v4, v2 row_bcast:15 row_mask:0xa bank_mask:0xf
	v_mov_b32_dpp v5, v3 row_bcast:15 row_mask:0xa bank_mask:0xf
	v_add_f64 v[2:3], v[2:3], v[4:5]
	s_cbranch_scc0 .LBB46_47
; %bb.44:
	v_cmp_eq_u32_e32 vcc, 31, v16
	s_and_saveexec_b64 s[0:1], vcc
	s_cbranch_execz .LBB46_46
.LBB46_45:
	s_lshl_b64 s[0:1], s[22:23], 4
	s_add_u32 s0, s8, s0
	s_addc_u32 s1, s9, s1
	v_mov_b32_e32 v4, 0
	s_add_u32 s2, s10, s20
	s_addc_u32 s3, s11, s21
	global_store_dwordx4 v4, v[0:3], s[0:1] glc slc
	s_nop 0
	v_mov_b32_e32 v0, 1
	s_waitcnt vmcnt(0)
	global_store_dword v4, v0, s[2:3]
.LBB46_46:
	s_endpgm
.LBB46_47:
	s_lshl_b32 s0, s15, 4
	v_mov_b32_e32 v4, s0
	s_waitcnt lgkmcnt(0)
	ds_read_b128 v[4:7], v4
	s_waitcnt lgkmcnt(0)
	v_mul_f64 v[8:9], v[6:7], -v[2:3]
	v_mul_f64 v[6:7], v[0:1], v[6:7]
	v_fmac_f64_e32 v[8:9], v[0:1], v[4:5]
	v_fmac_f64_e32 v[6:7], v[2:3], v[4:5]
	v_pk_mov_b32 v[0:1], v[8:9], v[8:9] op_sel:[0,1]
	v_pk_mov_b32 v[2:3], v[6:7], v[6:7] op_sel:[0,1]
	v_cmp_eq_u32_e32 vcc, 31, v16
	s_and_saveexec_b64 s[0:1], vcc
	s_cbranch_execnz .LBB46_45
	s_branch .LBB46_46
	.section	.rodata,"a",@progbits
	.p2align	6, 0x0
	.amdhsa_kernel _ZN9rocsparseL12csrsv_kernelILj1024ELj32ELb0Eil21rocsparse_complex_numIdEEEvT3_NS_24const_host_device_scalarIT4_EEPKT2_PKS3_PKS5_SD_lPS5_PiSB_iPS3_21rocsparse_index_base_20rocsparse_fill_mode_20rocsparse_diag_type_b
		.amdhsa_group_segment_fixed_size 8704
		.amdhsa_private_segment_fixed_size 0
		.amdhsa_kernarg_size 120
		.amdhsa_user_sgpr_count 8
		.amdhsa_user_sgpr_private_segment_buffer 1
		.amdhsa_user_sgpr_dispatch_ptr 1
		.amdhsa_user_sgpr_queue_ptr 0
		.amdhsa_user_sgpr_kernarg_segment_ptr 1
		.amdhsa_user_sgpr_dispatch_id 0
		.amdhsa_user_sgpr_flat_scratch_init 0
		.amdhsa_user_sgpr_kernarg_preload_length 0
		.amdhsa_user_sgpr_kernarg_preload_offset 0
		.amdhsa_user_sgpr_private_segment_size 0
		.amdhsa_uses_dynamic_stack 0
		.amdhsa_system_sgpr_private_segment_wavefront_offset 0
		.amdhsa_system_sgpr_workgroup_id_x 1
		.amdhsa_system_sgpr_workgroup_id_y 0
		.amdhsa_system_sgpr_workgroup_id_z 0
		.amdhsa_system_sgpr_workgroup_info 0
		.amdhsa_system_vgpr_workitem_id 2
		.amdhsa_next_free_vgpr 28
		.amdhsa_next_free_sgpr 41
		.amdhsa_accum_offset 28
		.amdhsa_reserve_vcc 1
		.amdhsa_reserve_flat_scratch 0
		.amdhsa_float_round_mode_32 0
		.amdhsa_float_round_mode_16_64 0
		.amdhsa_float_denorm_mode_32 3
		.amdhsa_float_denorm_mode_16_64 3
		.amdhsa_dx10_clamp 1
		.amdhsa_ieee_mode 1
		.amdhsa_fp16_overflow 0
		.amdhsa_tg_split 0
		.amdhsa_exception_fp_ieee_invalid_op 0
		.amdhsa_exception_fp_denorm_src 0
		.amdhsa_exception_fp_ieee_div_zero 0
		.amdhsa_exception_fp_ieee_overflow 0
		.amdhsa_exception_fp_ieee_underflow 0
		.amdhsa_exception_fp_ieee_inexact 0
		.amdhsa_exception_int_div_zero 0
	.end_amdhsa_kernel
	.section	.text._ZN9rocsparseL12csrsv_kernelILj1024ELj32ELb0Eil21rocsparse_complex_numIdEEEvT3_NS_24const_host_device_scalarIT4_EEPKT2_PKS3_PKS5_SD_lPS5_PiSB_iPS3_21rocsparse_index_base_20rocsparse_fill_mode_20rocsparse_diag_type_b,"axG",@progbits,_ZN9rocsparseL12csrsv_kernelILj1024ELj32ELb0Eil21rocsparse_complex_numIdEEEvT3_NS_24const_host_device_scalarIT4_EEPKT2_PKS3_PKS5_SD_lPS5_PiSB_iPS3_21rocsparse_index_base_20rocsparse_fill_mode_20rocsparse_diag_type_b,comdat
.Lfunc_end46:
	.size	_ZN9rocsparseL12csrsv_kernelILj1024ELj32ELb0Eil21rocsparse_complex_numIdEEEvT3_NS_24const_host_device_scalarIT4_EEPKT2_PKS3_PKS5_SD_lPS5_PiSB_iPS3_21rocsparse_index_base_20rocsparse_fill_mode_20rocsparse_diag_type_b, .Lfunc_end46-_ZN9rocsparseL12csrsv_kernelILj1024ELj32ELb0Eil21rocsparse_complex_numIdEEEvT3_NS_24const_host_device_scalarIT4_EEPKT2_PKS3_PKS5_SD_lPS5_PiSB_iPS3_21rocsparse_index_base_20rocsparse_fill_mode_20rocsparse_diag_type_b
                                        ; -- End function
	.section	.AMDGPU.csdata,"",@progbits
; Kernel info:
; codeLenInByte = 1976
; NumSgprs: 45
; NumVgprs: 28
; NumAgprs: 0
; TotalNumVgprs: 28
; ScratchSize: 0
; MemoryBound: 0
; FloatMode: 240
; IeeeMode: 1
; LDSByteSize: 8704 bytes/workgroup (compile time only)
; SGPRBlocks: 5
; VGPRBlocks: 3
; NumSGPRsForWavesPerEU: 45
; NumVGPRsForWavesPerEU: 28
; AccumOffset: 28
; Occupancy: 8
; WaveLimiterHint : 1
; COMPUTE_PGM_RSRC2:SCRATCH_EN: 0
; COMPUTE_PGM_RSRC2:USER_SGPR: 8
; COMPUTE_PGM_RSRC2:TRAP_HANDLER: 0
; COMPUTE_PGM_RSRC2:TGID_X_EN: 1
; COMPUTE_PGM_RSRC2:TGID_Y_EN: 0
; COMPUTE_PGM_RSRC2:TGID_Z_EN: 0
; COMPUTE_PGM_RSRC2:TIDIG_COMP_CNT: 2
; COMPUTE_PGM_RSRC3_GFX90A:ACCUM_OFFSET: 6
; COMPUTE_PGM_RSRC3_GFX90A:TG_SPLIT: 0
	.section	.text._ZN9rocsparseL12csrsv_kernelILj1024ELj64ELb0Eil21rocsparse_complex_numIdEEEvT3_NS_24const_host_device_scalarIT4_EEPKT2_PKS3_PKS5_SD_lPS5_PiSB_iPS3_21rocsparse_index_base_20rocsparse_fill_mode_20rocsparse_diag_type_b,"axG",@progbits,_ZN9rocsparseL12csrsv_kernelILj1024ELj64ELb0Eil21rocsparse_complex_numIdEEEvT3_NS_24const_host_device_scalarIT4_EEPKT2_PKS3_PKS5_SD_lPS5_PiSB_iPS3_21rocsparse_index_base_20rocsparse_fill_mode_20rocsparse_diag_type_b,comdat
	.globl	_ZN9rocsparseL12csrsv_kernelILj1024ELj64ELb0Eil21rocsparse_complex_numIdEEEvT3_NS_24const_host_device_scalarIT4_EEPKT2_PKS3_PKS5_SD_lPS5_PiSB_iPS3_21rocsparse_index_base_20rocsparse_fill_mode_20rocsparse_diag_type_b ; -- Begin function _ZN9rocsparseL12csrsv_kernelILj1024ELj64ELb0Eil21rocsparse_complex_numIdEEEvT3_NS_24const_host_device_scalarIT4_EEPKT2_PKS3_PKS5_SD_lPS5_PiSB_iPS3_21rocsparse_index_base_20rocsparse_fill_mode_20rocsparse_diag_type_b
	.p2align	8
	.type	_ZN9rocsparseL12csrsv_kernelILj1024ELj64ELb0Eil21rocsparse_complex_numIdEEEvT3_NS_24const_host_device_scalarIT4_EEPKT2_PKS3_PKS5_SD_lPS5_PiSB_iPS3_21rocsparse_index_base_20rocsparse_fill_mode_20rocsparse_diag_type_b,@function
_ZN9rocsparseL12csrsv_kernelILj1024ELj64ELb0Eil21rocsparse_complex_numIdEEEvT3_NS_24const_host_device_scalarIT4_EEPKT2_PKS3_PKS5_SD_lPS5_PiSB_iPS3_21rocsparse_index_base_20rocsparse_fill_mode_20rocsparse_diag_type_b: ; @_ZN9rocsparseL12csrsv_kernelILj1024ELj64ELb0Eil21rocsparse_complex_numIdEEEvT3_NS_24const_host_device_scalarIT4_EEPKT2_PKS3_PKS5_SD_lPS5_PiSB_iPS3_21rocsparse_index_base_20rocsparse_fill_mode_20rocsparse_diag_type_b
; %bb.0:
	s_load_dwordx4 s[12:15], s[6:7], 0x68
	s_load_dwordx2 s[10:11], s[4:5], 0x4
	s_load_dwordx4 s[0:3], s[6:7], 0x0
	s_load_dwordx2 s[16:17], s[6:7], 0x10
	v_and_b32_e32 v4, 0x3ff, v0
	v_bfe_u32 v2, v0, 10, 10
	s_waitcnt lgkmcnt(0)
	s_lshr_b32 s5, s10, 16
	s_mul_i32 s5, s5, s11
	v_mul_lo_u32 v1, s5, v4
	s_and_b32 s4, 1, s15
	v_mad_u32_u24 v1, v2, s11, v1
	v_bfe_u32 v0, v0, 20, 10
	s_cmp_eq_u32 s4, 1
	v_add_lshl_u32 v2, v1, v0, 3
	v_add_u32_e32 v3, 0x100, v2
	v_pk_mov_b32 v[0:1], s[2:3], s[2:3] op_sel:[0,1]
	s_cselect_b64 vcc, -1, 0
	ds_write_b64 v2, v[0:1] offset:256
	s_mov_b64 s[4:5], src_shared_base
	v_cndmask_b32_e32 v0, v0, v3, vcc
	s_and_b64 vcc, vcc, exec
	s_cselect_b32 s4, s5, s3
	v_mov_b32_e32 v1, s4
	flat_load_dwordx2 v[0:1], v[0:1]
	v_pk_mov_b32 v[2:3], s[16:17], s[16:17] op_sel:[0,1]
	s_cbranch_vccnz .LBB47_2
; %bb.1:
	v_pk_mov_b32 v[2:3], s[2:3], s[2:3] op_sel:[0,1]
	flat_load_dwordx2 v[2:3], v[2:3] offset:8
.LBB47_2:
	v_lshrrev_b32_e32 v5, 6, v4
	v_mov_b32_e32 v6, s0
	v_readfirstlane_b32 s15, v5
	s_lshl_b32 s0, s8, 4
	v_mov_b32_e32 v7, s1
	s_add_i32 s0, s15, s0
	s_mov_b32 s1, 0
	v_cmp_ge_i64_e32 vcc, s[0:1], v[6:7]
	s_cbranch_vccnz .LBB47_46
; %bb.3:
	s_load_dword s2, s[6:7], 0x58
	s_load_dwordx2 s[4:5], s[6:7], 0x50
	s_lshl_b64 s[0:1], s[0:1], 3
	v_and_b32_e32 v16, 63, v4
	v_pk_mov_b32 v[8:9], 0, 0
	s_waitcnt lgkmcnt(0)
	s_ashr_i32 s3, s2, 31
	s_add_u32 s4, s4, s0
	s_addc_u32 s5, s5, s1
	s_lshl_b64 s[0:1], s[2:3], 3
	s_add_u32 s0, s4, s0
	s_addc_u32 s1, s5, s1
	s_load_dwordx2 s[22:23], s[0:1], 0x0
	s_load_dwordx2 s[2:3], s[6:7], 0x18
	s_load_dwordx4 s[8:11], s[6:7], 0x40
	v_cmp_eq_u32_e32 vcc, 0, v16
	v_pk_mov_b32 v[4:5], v[8:9], v[8:9] op_sel:[0,1]
	s_waitcnt lgkmcnt(0)
	s_lshl_b64 s[20:21], s[22:23], 2
	s_add_u32 s0, s2, s20
	s_addc_u32 s1, s3, s21
	s_load_dwordx2 s[0:1], s[0:1], 0x0
	s_and_saveexec_b64 s[2:3], vcc
	s_cbranch_execz .LBB47_5
; %bb.4:
	s_load_dwordx4 s[16:19], s[6:7], 0x30
	s_waitcnt lgkmcnt(0)
	s_mul_i32 s5, s22, s19
	s_mul_hi_u32 s19, s22, s18
	s_mul_i32 s24, s23, s18
	s_add_i32 s5, s19, s5
	s_mul_i32 s4, s22, s18
	s_add_i32 s5, s5, s24
	s_lshl_b64 s[4:5], s[4:5], 4
	s_add_u32 s4, s16, s4
	s_addc_u32 s5, s17, s5
	s_load_dwordx4 s[16:19], s[4:5], 0x0
	s_waitcnt vmcnt(0) lgkmcnt(0)
	v_mul_f64 v[8:9], s[18:19], -v[2:3]
	v_mul_f64 v[4:5], v[0:1], s[18:19]
	v_fmac_f64_e32 v[8:9], s[16:17], v[0:1]
	v_fmac_f64_e32 v[4:5], s[16:17], v[2:3]
.LBB47_5:
	s_or_b64 exec, exec, s[2:3]
	s_waitcnt vmcnt(0)
	v_subrev_u32_e32 v0, s12, v16
	s_waitcnt lgkmcnt(0)
	s_sub_i32 s33, s1, s12
	v_add_u32_e32 v6, s0, v0
	v_cmp_gt_i32_e32 vcc, s33, v6
	s_and_saveexec_b64 s[24:25], vcc
	s_cbranch_execz .LBB47_43
; %bb.6:
	s_load_dwordx2 s[26:27], s[6:7], 0x60
	s_load_dwordx4 s[16:19], s[6:7], 0x20
	s_cmp_eq_u32 s14, 0
	s_cselect_b64 s[6:7], -1, 0
	s_mov_b32 s0, 0
	s_add_u32 s28, s22, s12
	v_cndmask_b32_e64 v0, 0, 1, s[6:7]
	s_mov_b32 s40, s12
	s_addc_u32 s29, s23, 0
	s_lshl_b32 s12, s15, 4
	s_mov_b64 s[30:31], 0
	s_waitcnt lgkmcnt(0)
	v_mov_b32_e32 v17, s17
	v_mov_b32_e32 v18, s0
	v_mov_b32_e32 v19, s19
	v_mov_b32_e32 v20, 0
	v_cmp_ne_u32_e64 s[0:1], 1, v0
	s_branch .LBB47_8
.LBB47_7:                               ;   in Loop: Header=BB47_8 Depth=1
	s_or_b64 exec, exec, s[34:35]
	s_and_b64 s[2:3], exec, s[2:3]
	s_or_b64 s[30:31], s[2:3], s[30:31]
	v_pk_mov_b32 v[4:5], v[12:13], v[12:13] op_sel:[0,1]
	v_pk_mov_b32 v[8:9], v[14:15], v[14:15] op_sel:[0,1]
	s_andn2_b64 exec, exec, s[30:31]
	s_cbranch_execz .LBB47_42
.LBB47_8:                               ; =>This Loop Header: Depth=1
                                        ;     Child Loop BB47_33 Depth 2
	v_ashrrev_i32_e32 v7, 31, v6
	v_lshlrev_b64 v[0:1], 3, v[6:7]
	v_add_co_u32_e32 v0, vcc, s16, v0
	v_addc_co_u32_e32 v1, vcc, v17, v1, vcc
	global_load_dwordx2 v[10:11], v[0:1], off glc slc
	v_lshlrev_b64 v[0:1], 4, v[6:7]
	v_add_co_u32_e32 v0, vcc, s18, v0
	v_addc_co_u32_e32 v1, vcc, v19, v1, vcc
	global_load_dwordx4 v[0:3], v[0:1], off glc slc
	s_waitcnt vmcnt(1)
	v_subrev_co_u32_e32 v10, vcc, s40, v10
	v_subb_co_u32_e32 v11, vcc, v11, v18, vcc
	s_waitcnt vmcnt(0)
	v_cmp_eq_f64_e32 vcc, 0, v[0:1]
	v_cmp_eq_f64_e64 s[2:3], 0, v[2:3]
	s_and_b64 s[2:3], vcc, s[2:3]
	v_cmp_eq_u64_e32 vcc, s[22:23], v[10:11]
	s_and_b64 s[2:3], s[2:3], vcc
	s_and_b64 s[2:3], s[6:7], s[2:3]
	s_and_saveexec_b64 s[4:5], s[2:3]
	s_cbranch_execz .LBB47_12
; %bb.9:                                ;   in Loop: Header=BB47_8 Depth=1
	v_mbcnt_lo_u32_b32 v0, exec_lo, 0
	v_mbcnt_hi_u32_b32 v0, exec_hi, v0
	v_cmp_eq_u32_e64 s[2:3], 0, v0
	s_and_saveexec_b64 s[34:35], s[2:3]
	s_cbranch_execz .LBB47_11
; %bb.10:                               ;   in Loop: Header=BB47_8 Depth=1
	v_pk_mov_b32 v[0:1], s[28:29], s[28:29] op_sel:[0,1]
	global_atomic_umin_x2 v20, v[0:1], s[26:27]
.LBB47_11:                              ;   in Loop: Header=BB47_8 Depth=1
	s_or_b64 exec, exec, s[34:35]
	v_mov_b32_e32 v0, 0
	v_mov_b32_e32 v1, 0x3ff00000
	v_pk_mov_b32 v[2:3], 0, 0
.LBB47_12:                              ;   in Loop: Header=BB47_8 Depth=1
	s_or_b64 exec, exec, s[4:5]
	v_cmp_ne_u64_e64 s[2:3], s[22:23], v[10:11]
	s_cmp_lt_i32 s13, 1
	s_mov_b64 s[34:35], 0
	s_cbranch_scc1 .LBB47_21
; %bb.13:                               ;   in Loop: Header=BB47_8 Depth=1
	s_cmp_eq_u32 s13, 1
	s_cbranch_scc0 .LBB47_22
; %bb.14:                               ;   in Loop: Header=BB47_8 Depth=1
	v_cmp_le_i64_e64 s[4:5], s[22:23], v[10:11]
	s_mov_b64 s[36:37], 0
	s_and_saveexec_b64 s[38:39], s[4:5]
	s_cbranch_execz .LBB47_20
; %bb.15:                               ;   in Loop: Header=BB47_8 Depth=1
	s_mov_b64 s[36:37], -1
	s_and_saveexec_b64 s[4:5], vcc
	s_xor_b64 s[4:5], exec, s[4:5]
	s_cbranch_execz .LBB47_19
; %bb.16:                               ;   in Loop: Header=BB47_8 Depth=1
	s_and_b64 vcc, exec, s[0:1]
	s_cbranch_vccnz .LBB47_18
; %bb.17:                               ;   in Loop: Header=BB47_8 Depth=1
	v_mul_f64 v[12:13], v[2:3], v[2:3]
	v_fmac_f64_e32 v[12:13], v[0:1], v[0:1]
	v_div_scale_f64 v[14:15], s[36:37], v[12:13], v[12:13], 1.0
	v_rcp_f64_e32 v[22:23], v[14:15]
	v_div_scale_f64 v[24:25], vcc, 1.0, v[12:13], 1.0
	v_mov_b32_e32 v7, s12
	v_fma_f64 v[26:27], -v[14:15], v[22:23], 1.0
	v_fmac_f64_e32 v[22:23], v[22:23], v[26:27]
	v_fma_f64 v[26:27], -v[14:15], v[22:23], 1.0
	v_fmac_f64_e32 v[22:23], v[22:23], v[26:27]
	v_mul_f64 v[26:27], v[24:25], v[22:23]
	v_fma_f64 v[14:15], -v[14:15], v[26:27], v[24:25]
	v_div_fmas_f64 v[14:15], v[14:15], v[22:23], v[26:27]
	v_div_fixup_f64 v[14:15], v[14:15], v[12:13], 1.0
	v_fma_f64 v[12:13], 0, v[2:3], v[0:1]
	v_fma_f64 v[22:23], v[0:1], 0, -v[2:3]
	v_mul_f64 v[12:13], v[12:13], v[14:15]
	v_mul_f64 v[14:15], v[22:23], v[14:15]
	ds_write_b128 v7, v[12:15]
.LBB47_18:                              ;   in Loop: Header=BB47_8 Depth=1
	s_xor_b64 s[36:37], exec, -1
.LBB47_19:                              ;   in Loop: Header=BB47_8 Depth=1
	s_or_b64 exec, exec, s[4:5]
	s_and_b64 s[36:37], s[36:37], exec
.LBB47_20:                              ;   in Loop: Header=BB47_8 Depth=1
	s_or_b64 exec, exec, s[38:39]
	s_mov_b32 s17, 4
	v_pk_mov_b32 v[12:13], v[4:5], v[4:5] op_sel:[0,1]
	v_pk_mov_b32 v[14:15], v[8:9], v[8:9] op_sel:[0,1]
	s_branch .LBB47_23
.LBB47_21:                              ;   in Loop: Header=BB47_8 Depth=1
	s_mov_b64 s[36:37], 0
                                        ; implicit-def: $sgpr17
                                        ; implicit-def: $vgpr12_vgpr13
                                        ; implicit-def: $vgpr14_vgpr15
	s_cbranch_execnz .LBB47_24
	s_branch .LBB47_26
.LBB47_22:                              ;   in Loop: Header=BB47_8 Depth=1
	s_mov_b64 s[36:37], -1
                                        ; implicit-def: $sgpr17
                                        ; implicit-def: $vgpr12_vgpr13
                                        ; implicit-def: $vgpr14_vgpr15
.LBB47_23:                              ;   in Loop: Header=BB47_8 Depth=1
	s_branch .LBB47_26
.LBB47_24:                              ;   in Loop: Header=BB47_8 Depth=1
	s_cmp_eq_u32 s13, 0
	s_cbranch_scc1 .LBB47_28
; %bb.25:                               ;   in Loop: Header=BB47_8 Depth=1
	s_mov_b64 s[36:37], -1
                                        ; implicit-def: $sgpr17
                                        ; implicit-def: $vgpr12_vgpr13
                                        ; implicit-def: $vgpr14_vgpr15
.LBB47_26:                              ;   in Loop: Header=BB47_8 Depth=1
	v_mov_b32_e32 v7, s17
	s_and_saveexec_b64 s[2:3], s[36:37]
	s_cbranch_execnz .LBB47_31
.LBB47_27:                              ;   in Loop: Header=BB47_8 Depth=1
	s_or_b64 exec, exec, s[2:3]
	s_and_saveexec_b64 s[2:3], s[34:35]
	s_cbranch_execnz .LBB47_35
	s_branch .LBB47_38
.LBB47_28:                              ;   in Loop: Header=BB47_8 Depth=1
	v_cmp_ge_i64_e32 vcc, s[22:23], v[10:11]
	s_mov_b64 s[36:37], 0
	s_and_saveexec_b64 s[4:5], vcc
; %bb.29:                               ;   in Loop: Header=BB47_8 Depth=1
	s_mov_b64 s[34:35], exec
	s_and_b64 s[36:37], s[2:3], exec
; %bb.30:                               ;   in Loop: Header=BB47_8 Depth=1
	s_or_b64 exec, exec, s[4:5]
	s_mov_b32 s17, 2
	v_pk_mov_b32 v[12:13], v[4:5], v[4:5] op_sel:[0,1]
	v_pk_mov_b32 v[14:15], v[8:9], v[8:9] op_sel:[0,1]
	v_mov_b32_e32 v7, s17
	s_and_saveexec_b64 s[2:3], s[36:37]
	s_cbranch_execz .LBB47_27
.LBB47_31:                              ;   in Loop: Header=BB47_8 Depth=1
	v_lshlrev_b64 v[12:13], 2, v[10:11]
	v_mov_b32_e32 v7, s11
	v_add_co_u32_e32 v12, vcc, s10, v12
	v_addc_co_u32_e32 v13, vcc, v7, v13, vcc
	global_load_dword v7, v[12:13], off glc
	s_waitcnt vmcnt(0)
	v_cmp_eq_u32_e32 vcc, 0, v7
	s_and_saveexec_b64 s[4:5], vcc
	s_cbranch_execz .LBB47_34
; %bb.32:                               ;   in Loop: Header=BB47_8 Depth=1
	s_mov_b64 s[36:37], 0
.LBB47_33:                              ;   Parent Loop BB47_8 Depth=1
                                        ; =>  This Inner Loop Header: Depth=2
	global_load_dword v7, v[12:13], off glc
	s_waitcnt vmcnt(0)
	v_cmp_ne_u32_e32 vcc, 0, v7
	s_or_b64 s[36:37], vcc, s[36:37]
	s_andn2_b64 exec, exec, s[36:37]
	s_cbranch_execnz .LBB47_33
.LBB47_34:                              ;   in Loop: Header=BB47_8 Depth=1
	s_or_b64 exec, exec, s[4:5]
	v_lshlrev_b64 v[10:11], 4, v[10:11]
	v_mov_b32_e32 v7, s9
	v_add_co_u32_e32 v10, vcc, s8, v10
	v_addc_co_u32_e32 v11, vcc, v7, v11, vcc
	s_waitcnt lgkmcnt(0)
	buffer_wbinvl1_vol
	global_load_dwordx4 v[10:13], v[10:11], off
	v_mov_b32_e32 v7, 0
	s_andn2_b64 s[34:35], s[34:35], exec
	s_waitcnt vmcnt(0)
	v_fma_f64 v[14:15], -v[0:1], v[10:11], v[8:9]
	v_fma_f64 v[10:11], -v[2:3], v[10:11], v[4:5]
	v_fmac_f64_e32 v[14:15], v[2:3], v[12:13]
	v_fma_f64 v[12:13], -v[0:1], v[12:13], v[10:11]
	s_or_b64 exec, exec, s[2:3]
	s_and_saveexec_b64 s[2:3], s[34:35]
	s_cbranch_execz .LBB47_38
.LBB47_35:                              ;   in Loop: Header=BB47_8 Depth=1
	s_and_b64 vcc, exec, s[0:1]
	s_cbranch_vccnz .LBB47_37
; %bb.36:                               ;   in Loop: Header=BB47_8 Depth=1
	v_mul_f64 v[10:11], v[2:3], v[2:3]
	v_fmac_f64_e32 v[10:11], v[0:1], v[0:1]
	v_div_scale_f64 v[12:13], s[4:5], v[10:11], v[10:11], 1.0
	v_rcp_f64_e32 v[14:15], v[12:13]
	v_div_scale_f64 v[22:23], vcc, 1.0, v[10:11], 1.0
	v_fma_f64 v[24:25], -v[12:13], v[14:15], 1.0
	v_fmac_f64_e32 v[14:15], v[14:15], v[24:25]
	v_fma_f64 v[24:25], -v[12:13], v[14:15], 1.0
	v_fmac_f64_e32 v[14:15], v[14:15], v[24:25]
	v_mul_f64 v[24:25], v[22:23], v[14:15]
	v_fma_f64 v[12:13], -v[12:13], v[24:25], v[22:23]
	v_div_fmas_f64 v[12:13], v[12:13], v[14:15], v[24:25]
	v_div_fixup_f64 v[12:13], v[12:13], v[10:11], 1.0
	v_fma_f64 v[10:11], 0, v[2:3], v[0:1]
	v_fma_f64 v[0:1], v[0:1], 0, -v[2:3]
	v_mul_f64 v[10:11], v[10:11], v[12:13]
	v_mul_f64 v[12:13], v[0:1], v[12:13]
	v_mov_b32_e32 v0, s12
	ds_write_b128 v0, v[10:13]
.LBB47_37:                              ;   in Loop: Header=BB47_8 Depth=1
	v_mov_b32_e32 v7, 2
	v_pk_mov_b32 v[14:15], v[8:9], v[8:9] op_sel:[0,1]
	v_pk_mov_b32 v[12:13], v[4:5], v[4:5] op_sel:[0,1]
.LBB47_38:                              ;   in Loop: Header=BB47_8 Depth=1
	s_or_b64 exec, exec, s[2:3]
	v_cmp_gt_i32_e32 vcc, 4, v7
	s_mov_b64 s[2:3], -1
	s_mov_b64 s[4:5], -1
	s_and_saveexec_b64 s[34:35], vcc
; %bb.39:                               ;   in Loop: Header=BB47_8 Depth=1
	v_cmp_eq_u32_e32 vcc, 0, v7
	s_orn2_b64 s[4:5], vcc, exec
; %bb.40:                               ;   in Loop: Header=BB47_8 Depth=1
	s_or_b64 exec, exec, s[34:35]
	s_and_saveexec_b64 s[34:35], s[4:5]
	s_cbranch_execz .LBB47_7
; %bb.41:                               ;   in Loop: Header=BB47_8 Depth=1
	v_add_u32_e32 v6, 64, v6
	v_cmp_le_i32_e32 vcc, s33, v6
	s_orn2_b64 s[2:3], vcc, exec
	s_branch .LBB47_7
.LBB47_42:
	s_or_b64 exec, exec, s[30:31]
	v_pk_mov_b32 v[4:5], v[12:13], v[12:13] op_sel:[0,1]
	v_pk_mov_b32 v[8:9], v[14:15], v[14:15] op_sel:[0,1]
.LBB47_43:
	s_or_b64 exec, exec, s[24:25]
	s_nop 0
	v_mov_b32_dpp v0, v8 row_shr:1 row_mask:0xf bank_mask:0xf
	v_mov_b32_dpp v1, v9 row_shr:1 row_mask:0xf bank_mask:0xf
	v_add_f64 v[0:1], v[8:9], v[0:1]
	s_cmp_lg_u32 s14, 0
	s_nop 0
	v_mov_b32_dpp v2, v0 row_shr:2 row_mask:0xf bank_mask:0xf
	v_mov_b32_dpp v3, v1 row_shr:2 row_mask:0xf bank_mask:0xf
	v_add_f64 v[0:1], v[0:1], v[2:3]
	s_nop 1
	v_mov_b32_dpp v2, v0 row_shr:4 row_mask:0xf bank_mask:0xe
	v_mov_b32_dpp v3, v1 row_shr:4 row_mask:0xf bank_mask:0xe
	v_add_f64 v[0:1], v[0:1], v[2:3]
	;; [unrolled: 4-line block ×3, first 2 shown]
	s_nop 1
	v_mov_b32_dpp v2, v0 row_bcast:15 row_mask:0xa bank_mask:0xf
	v_mov_b32_dpp v3, v1 row_bcast:15 row_mask:0xa bank_mask:0xf
	v_add_f64 v[0:1], v[0:1], v[2:3]
	s_nop 1
	v_mov_b32_dpp v2, v0 row_bcast:31 row_mask:0xc bank_mask:0xf
	v_mov_b32_dpp v3, v1 row_bcast:31 row_mask:0xc bank_mask:0xf
	v_add_f64 v[0:1], v[0:1], v[2:3]
	v_mov_b32_dpp v2, v4 row_shr:1 row_mask:0xf bank_mask:0xf
	v_mov_b32_dpp v3, v5 row_shr:1 row_mask:0xf bank_mask:0xf
	v_add_f64 v[2:3], v[4:5], v[2:3]
	s_nop 1
	v_mov_b32_dpp v4, v2 row_shr:2 row_mask:0xf bank_mask:0xf
	v_mov_b32_dpp v5, v3 row_shr:2 row_mask:0xf bank_mask:0xf
	v_add_f64 v[2:3], v[2:3], v[4:5]
	s_nop 1
	;; [unrolled: 4-line block ×4, first 2 shown]
	v_mov_b32_dpp v4, v2 row_bcast:15 row_mask:0xa bank_mask:0xf
	v_mov_b32_dpp v5, v3 row_bcast:15 row_mask:0xa bank_mask:0xf
	v_add_f64 v[2:3], v[2:3], v[4:5]
	s_nop 1
	v_mov_b32_dpp v4, v2 row_bcast:31 row_mask:0xc bank_mask:0xf
	v_mov_b32_dpp v5, v3 row_bcast:31 row_mask:0xc bank_mask:0xf
	v_add_f64 v[2:3], v[2:3], v[4:5]
	s_cbranch_scc0 .LBB47_47
; %bb.44:
	v_cmp_eq_u32_e32 vcc, 63, v16
	s_and_saveexec_b64 s[0:1], vcc
	s_cbranch_execz .LBB47_46
.LBB47_45:
	s_lshl_b64 s[0:1], s[22:23], 4
	s_add_u32 s0, s8, s0
	s_addc_u32 s1, s9, s1
	v_mov_b32_e32 v4, 0
	s_add_u32 s2, s10, s20
	s_addc_u32 s3, s11, s21
	global_store_dwordx4 v4, v[0:3], s[0:1] glc slc
	s_nop 0
	v_mov_b32_e32 v0, 1
	s_waitcnt vmcnt(0)
	global_store_dword v4, v0, s[2:3]
.LBB47_46:
	s_endpgm
.LBB47_47:
	s_lshl_b32 s0, s15, 4
	v_mov_b32_e32 v4, s0
	s_waitcnt lgkmcnt(0)
	ds_read_b128 v[4:7], v4
	s_waitcnt lgkmcnt(0)
	v_mul_f64 v[8:9], v[6:7], -v[2:3]
	v_mul_f64 v[6:7], v[0:1], v[6:7]
	v_fmac_f64_e32 v[8:9], v[0:1], v[4:5]
	v_fmac_f64_e32 v[6:7], v[2:3], v[4:5]
	v_pk_mov_b32 v[0:1], v[8:9], v[8:9] op_sel:[0,1]
	v_pk_mov_b32 v[2:3], v[6:7], v[6:7] op_sel:[0,1]
	v_cmp_eq_u32_e32 vcc, 63, v16
	s_and_saveexec_b64 s[0:1], vcc
	s_cbranch_execnz .LBB47_45
	s_branch .LBB47_46
	.section	.rodata,"a",@progbits
	.p2align	6, 0x0
	.amdhsa_kernel _ZN9rocsparseL12csrsv_kernelILj1024ELj64ELb0Eil21rocsparse_complex_numIdEEEvT3_NS_24const_host_device_scalarIT4_EEPKT2_PKS3_PKS5_SD_lPS5_PiSB_iPS3_21rocsparse_index_base_20rocsparse_fill_mode_20rocsparse_diag_type_b
		.amdhsa_group_segment_fixed_size 8448
		.amdhsa_private_segment_fixed_size 0
		.amdhsa_kernarg_size 120
		.amdhsa_user_sgpr_count 8
		.amdhsa_user_sgpr_private_segment_buffer 1
		.amdhsa_user_sgpr_dispatch_ptr 1
		.amdhsa_user_sgpr_queue_ptr 0
		.amdhsa_user_sgpr_kernarg_segment_ptr 1
		.amdhsa_user_sgpr_dispatch_id 0
		.amdhsa_user_sgpr_flat_scratch_init 0
		.amdhsa_user_sgpr_kernarg_preload_length 0
		.amdhsa_user_sgpr_kernarg_preload_offset 0
		.amdhsa_user_sgpr_private_segment_size 0
		.amdhsa_uses_dynamic_stack 0
		.amdhsa_system_sgpr_private_segment_wavefront_offset 0
		.amdhsa_system_sgpr_workgroup_id_x 1
		.amdhsa_system_sgpr_workgroup_id_y 0
		.amdhsa_system_sgpr_workgroup_id_z 0
		.amdhsa_system_sgpr_workgroup_info 0
		.amdhsa_system_vgpr_workitem_id 2
		.amdhsa_next_free_vgpr 28
		.amdhsa_next_free_sgpr 41
		.amdhsa_accum_offset 28
		.amdhsa_reserve_vcc 1
		.amdhsa_reserve_flat_scratch 0
		.amdhsa_float_round_mode_32 0
		.amdhsa_float_round_mode_16_64 0
		.amdhsa_float_denorm_mode_32 3
		.amdhsa_float_denorm_mode_16_64 3
		.amdhsa_dx10_clamp 1
		.amdhsa_ieee_mode 1
		.amdhsa_fp16_overflow 0
		.amdhsa_tg_split 0
		.amdhsa_exception_fp_ieee_invalid_op 0
		.amdhsa_exception_fp_denorm_src 0
		.amdhsa_exception_fp_ieee_div_zero 0
		.amdhsa_exception_fp_ieee_overflow 0
		.amdhsa_exception_fp_ieee_underflow 0
		.amdhsa_exception_fp_ieee_inexact 0
		.amdhsa_exception_int_div_zero 0
	.end_amdhsa_kernel
	.section	.text._ZN9rocsparseL12csrsv_kernelILj1024ELj64ELb0Eil21rocsparse_complex_numIdEEEvT3_NS_24const_host_device_scalarIT4_EEPKT2_PKS3_PKS5_SD_lPS5_PiSB_iPS3_21rocsparse_index_base_20rocsparse_fill_mode_20rocsparse_diag_type_b,"axG",@progbits,_ZN9rocsparseL12csrsv_kernelILj1024ELj64ELb0Eil21rocsparse_complex_numIdEEEvT3_NS_24const_host_device_scalarIT4_EEPKT2_PKS3_PKS5_SD_lPS5_PiSB_iPS3_21rocsparse_index_base_20rocsparse_fill_mode_20rocsparse_diag_type_b,comdat
.Lfunc_end47:
	.size	_ZN9rocsparseL12csrsv_kernelILj1024ELj64ELb0Eil21rocsparse_complex_numIdEEEvT3_NS_24const_host_device_scalarIT4_EEPKT2_PKS3_PKS5_SD_lPS5_PiSB_iPS3_21rocsparse_index_base_20rocsparse_fill_mode_20rocsparse_diag_type_b, .Lfunc_end47-_ZN9rocsparseL12csrsv_kernelILj1024ELj64ELb0Eil21rocsparse_complex_numIdEEEvT3_NS_24const_host_device_scalarIT4_EEPKT2_PKS3_PKS5_SD_lPS5_PiSB_iPS3_21rocsparse_index_base_20rocsparse_fill_mode_20rocsparse_diag_type_b
                                        ; -- End function
	.section	.AMDGPU.csdata,"",@progbits
; Kernel info:
; codeLenInByte = 2032
; NumSgprs: 45
; NumVgprs: 28
; NumAgprs: 0
; TotalNumVgprs: 28
; ScratchSize: 0
; MemoryBound: 0
; FloatMode: 240
; IeeeMode: 1
; LDSByteSize: 8448 bytes/workgroup (compile time only)
; SGPRBlocks: 5
; VGPRBlocks: 3
; NumSGPRsForWavesPerEU: 45
; NumVGPRsForWavesPerEU: 28
; AccumOffset: 28
; Occupancy: 8
; WaveLimiterHint : 1
; COMPUTE_PGM_RSRC2:SCRATCH_EN: 0
; COMPUTE_PGM_RSRC2:USER_SGPR: 8
; COMPUTE_PGM_RSRC2:TRAP_HANDLER: 0
; COMPUTE_PGM_RSRC2:TGID_X_EN: 1
; COMPUTE_PGM_RSRC2:TGID_Y_EN: 0
; COMPUTE_PGM_RSRC2:TGID_Z_EN: 0
; COMPUTE_PGM_RSRC2:TIDIG_COMP_CNT: 2
; COMPUTE_PGM_RSRC3_GFX90A:ACCUM_OFFSET: 6
; COMPUTE_PGM_RSRC3_GFX90A:TG_SPLIT: 0
	.text
	.p2alignl 6, 3212836864
	.fill 256, 4, 3212836864
	.type	__hip_cuid_9c5e5c72e62c3c9d,@object ; @__hip_cuid_9c5e5c72e62c3c9d
	.section	.bss,"aw",@nobits
	.globl	__hip_cuid_9c5e5c72e62c3c9d
__hip_cuid_9c5e5c72e62c3c9d:
	.byte	0                               ; 0x0
	.size	__hip_cuid_9c5e5c72e62c3c9d, 1

	.ident	"AMD clang version 19.0.0git (https://github.com/RadeonOpenCompute/llvm-project roc-6.4.0 25133 c7fe45cf4b819c5991fe208aaa96edf142730f1d)"
	.section	".note.GNU-stack","",@progbits
	.addrsig
	.addrsig_sym __hip_cuid_9c5e5c72e62c3c9d
	.amdgpu_metadata
---
amdhsa.kernels:
  - .agpr_count:     0
    .args:
      - .offset:         0
        .size:           4
        .value_kind:     by_value
      - .offset:         8
        .size:           8
        .value_kind:     by_value
      - .actual_access:  read_only
        .address_space:  global
        .offset:         16
        .size:           8
        .value_kind:     global_buffer
      - .actual_access:  read_only
        .address_space:  global
        .offset:         24
        .size:           8
        .value_kind:     global_buffer
      - .actual_access:  read_only
        .address_space:  global
        .offset:         32
        .size:           8
        .value_kind:     global_buffer
      - .actual_access:  read_only
        .address_space:  global
        .offset:         40
        .size:           8
        .value_kind:     global_buffer
      - .offset:         48
        .size:           8
        .value_kind:     by_value
      - .address_space:  global
        .offset:         56
        .size:           8
        .value_kind:     global_buffer
      - .address_space:  global
        .offset:         64
        .size:           8
        .value_kind:     global_buffer
      - .actual_access:  read_only
        .address_space:  global
        .offset:         72
        .size:           8
        .value_kind:     global_buffer
      - .offset:         80
        .size:           4
        .value_kind:     by_value
      - .address_space:  global
        .offset:         88
        .size:           8
        .value_kind:     global_buffer
      - .offset:         96
        .size:           4
        .value_kind:     by_value
      - .offset:         100
        .size:           4
        .value_kind:     by_value
      - .offset:         104
        .size:           4
        .value_kind:     by_value
      - .offset:         108
        .size:           1
        .value_kind:     by_value
    .group_segment_fixed_size: 64
    .kernarg_segment_align: 8
    .kernarg_segment_size: 112
    .language:       OpenCL C
    .language_version:
      - 2
      - 0
    .max_flat_workgroup_size: 1024
    .name:           _ZN9rocsparseL12csrsv_kernelILj1024ELj64ELb1EiifEEvT3_NS_24const_host_device_scalarIT4_EEPKT2_PKS1_PKS3_SB_lPS3_PiS9_iPS1_21rocsparse_index_base_20rocsparse_fill_mode_20rocsparse_diag_type_b
    .private_segment_fixed_size: 0
    .sgpr_count:     43
    .sgpr_spill_count: 0
    .symbol:         _ZN9rocsparseL12csrsv_kernelILj1024ELj64ELb1EiifEEvT3_NS_24const_host_device_scalarIT4_EEPKT2_PKS1_PKS3_SB_lPS3_PiS9_iPS1_21rocsparse_index_base_20rocsparse_fill_mode_20rocsparse_diag_type_b.kd
    .uniform_work_group_size: 1
    .uses_dynamic_stack: false
    .vgpr_count:     13
    .vgpr_spill_count: 0
    .wavefront_size: 64
  - .agpr_count:     0
    .args:
      - .offset:         0
        .size:           4
        .value_kind:     by_value
      - .offset:         8
        .size:           8
        .value_kind:     by_value
      - .actual_access:  read_only
        .address_space:  global
        .offset:         16
        .size:           8
        .value_kind:     global_buffer
      - .actual_access:  read_only
        .address_space:  global
        .offset:         24
        .size:           8
        .value_kind:     global_buffer
      - .actual_access:  read_only
        .address_space:  global
        .offset:         32
        .size:           8
        .value_kind:     global_buffer
      - .actual_access:  read_only
        .address_space:  global
        .offset:         40
        .size:           8
        .value_kind:     global_buffer
      - .offset:         48
        .size:           8
        .value_kind:     by_value
      - .address_space:  global
        .offset:         56
        .size:           8
        .value_kind:     global_buffer
      - .address_space:  global
        .offset:         64
        .size:           8
        .value_kind:     global_buffer
      - .actual_access:  read_only
        .address_space:  global
        .offset:         72
        .size:           8
        .value_kind:     global_buffer
      - .offset:         80
        .size:           4
        .value_kind:     by_value
      - .address_space:  global
        .offset:         88
        .size:           8
        .value_kind:     global_buffer
      - .offset:         96
        .size:           4
        .value_kind:     by_value
      - .offset:         100
        .size:           4
        .value_kind:     by_value
      - .offset:         104
        .size:           4
        .value_kind:     by_value
      - .offset:         108
        .size:           1
        .value_kind:     by_value
    .group_segment_fixed_size: 128
    .kernarg_segment_align: 8
    .kernarg_segment_size: 112
    .language:       OpenCL C
    .language_version:
      - 2
      - 0
    .max_flat_workgroup_size: 1024
    .name:           _ZN9rocsparseL12csrsv_kernelILj1024ELj32ELb0EiifEEvT3_NS_24const_host_device_scalarIT4_EEPKT2_PKS1_PKS3_SB_lPS3_PiS9_iPS1_21rocsparse_index_base_20rocsparse_fill_mode_20rocsparse_diag_type_b
    .private_segment_fixed_size: 0
    .sgpr_count:     43
    .sgpr_spill_count: 0
    .symbol:         _ZN9rocsparseL12csrsv_kernelILj1024ELj32ELb0EiifEEvT3_NS_24const_host_device_scalarIT4_EEPKT2_PKS1_PKS3_SB_lPS3_PiS9_iPS1_21rocsparse_index_base_20rocsparse_fill_mode_20rocsparse_diag_type_b.kd
    .uniform_work_group_size: 1
    .uses_dynamic_stack: false
    .vgpr_count:     13
    .vgpr_spill_count: 0
    .wavefront_size: 64
  - .agpr_count:     0
    .args:
      - .offset:         0
        .size:           4
        .value_kind:     by_value
      - .offset:         8
        .size:           8
        .value_kind:     by_value
      - .actual_access:  read_only
        .address_space:  global
        .offset:         16
        .size:           8
        .value_kind:     global_buffer
      - .actual_access:  read_only
        .address_space:  global
        .offset:         24
        .size:           8
        .value_kind:     global_buffer
      - .actual_access:  read_only
        .address_space:  global
        .offset:         32
        .size:           8
        .value_kind:     global_buffer
      - .actual_access:  read_only
        .address_space:  global
        .offset:         40
        .size:           8
        .value_kind:     global_buffer
      - .offset:         48
        .size:           8
        .value_kind:     by_value
      - .address_space:  global
        .offset:         56
        .size:           8
        .value_kind:     global_buffer
      - .address_space:  global
        .offset:         64
        .size:           8
        .value_kind:     global_buffer
      - .actual_access:  read_only
        .address_space:  global
        .offset:         72
        .size:           8
        .value_kind:     global_buffer
      - .offset:         80
        .size:           4
        .value_kind:     by_value
      - .address_space:  global
        .offset:         88
        .size:           8
        .value_kind:     global_buffer
      - .offset:         96
        .size:           4
        .value_kind:     by_value
      - .offset:         100
        .size:           4
        .value_kind:     by_value
      - .offset:         104
        .size:           4
        .value_kind:     by_value
      - .offset:         108
        .size:           1
        .value_kind:     by_value
    .group_segment_fixed_size: 64
    .kernarg_segment_align: 8
    .kernarg_segment_size: 112
    .language:       OpenCL C
    .language_version:
      - 2
      - 0
    .max_flat_workgroup_size: 1024
    .name:           _ZN9rocsparseL12csrsv_kernelILj1024ELj64ELb0EiifEEvT3_NS_24const_host_device_scalarIT4_EEPKT2_PKS1_PKS3_SB_lPS3_PiS9_iPS1_21rocsparse_index_base_20rocsparse_fill_mode_20rocsparse_diag_type_b
    .private_segment_fixed_size: 0
    .sgpr_count:     43
    .sgpr_spill_count: 0
    .symbol:         _ZN9rocsparseL12csrsv_kernelILj1024ELj64ELb0EiifEEvT3_NS_24const_host_device_scalarIT4_EEPKT2_PKS1_PKS3_SB_lPS3_PiS9_iPS1_21rocsparse_index_base_20rocsparse_fill_mode_20rocsparse_diag_type_b.kd
    .uniform_work_group_size: 1
    .uses_dynamic_stack: false
    .vgpr_count:     13
    .vgpr_spill_count: 0
    .wavefront_size: 64
  - .agpr_count:     0
    .args:
      - .offset:         0
        .size:           4
        .value_kind:     by_value
      - .offset:         8
        .size:           8
        .value_kind:     by_value
      - .actual_access:  read_only
        .address_space:  global
        .offset:         16
        .size:           8
        .value_kind:     global_buffer
      - .actual_access:  read_only
        .address_space:  global
        .offset:         24
        .size:           8
        .value_kind:     global_buffer
      - .actual_access:  read_only
        .address_space:  global
        .offset:         32
        .size:           8
        .value_kind:     global_buffer
      - .actual_access:  read_only
        .address_space:  global
        .offset:         40
        .size:           8
        .value_kind:     global_buffer
      - .offset:         48
        .size:           8
        .value_kind:     by_value
      - .address_space:  global
        .offset:         56
        .size:           8
        .value_kind:     global_buffer
      - .address_space:  global
        .offset:         64
        .size:           8
        .value_kind:     global_buffer
      - .actual_access:  read_only
        .address_space:  global
        .offset:         72
        .size:           8
        .value_kind:     global_buffer
      - .offset:         80
        .size:           4
        .value_kind:     by_value
      - .address_space:  global
        .offset:         88
        .size:           8
        .value_kind:     global_buffer
      - .offset:         96
        .size:           4
        .value_kind:     by_value
      - .offset:         100
        .size:           4
        .value_kind:     by_value
      - .offset:         104
        .size:           4
        .value_kind:     by_value
      - .offset:         108
        .size:           1
        .value_kind:     by_value
    .group_segment_fixed_size: 128
    .kernarg_segment_align: 8
    .kernarg_segment_size: 112
    .language:       OpenCL C
    .language_version:
      - 2
      - 0
    .max_flat_workgroup_size: 1024
    .name:           _ZN9rocsparseL12csrsv_kernelILj1024ELj64ELb1EiidEEvT3_NS_24const_host_device_scalarIT4_EEPKT2_PKS1_PKS3_SB_lPS3_PiS9_iPS1_21rocsparse_index_base_20rocsparse_fill_mode_20rocsparse_diag_type_b
    .private_segment_fixed_size: 0
    .sgpr_count:     44
    .sgpr_spill_count: 0
    .symbol:         _ZN9rocsparseL12csrsv_kernelILj1024ELj64ELb1EiidEEvT3_NS_24const_host_device_scalarIT4_EEPKT2_PKS1_PKS3_SB_lPS3_PiS9_iPS1_21rocsparse_index_base_20rocsparse_fill_mode_20rocsparse_diag_type_b.kd
    .uniform_work_group_size: 1
    .uses_dynamic_stack: false
    .vgpr_count:     20
    .vgpr_spill_count: 0
    .wavefront_size: 64
  - .agpr_count:     0
    .args:
      - .offset:         0
        .size:           4
        .value_kind:     by_value
      - .offset:         8
        .size:           8
        .value_kind:     by_value
      - .actual_access:  read_only
        .address_space:  global
        .offset:         16
        .size:           8
        .value_kind:     global_buffer
      - .actual_access:  read_only
        .address_space:  global
        .offset:         24
        .size:           8
        .value_kind:     global_buffer
      - .actual_access:  read_only
        .address_space:  global
        .offset:         32
        .size:           8
        .value_kind:     global_buffer
      - .actual_access:  read_only
        .address_space:  global
        .offset:         40
        .size:           8
        .value_kind:     global_buffer
      - .offset:         48
        .size:           8
        .value_kind:     by_value
      - .address_space:  global
        .offset:         56
        .size:           8
        .value_kind:     global_buffer
      - .address_space:  global
        .offset:         64
        .size:           8
        .value_kind:     global_buffer
      - .actual_access:  read_only
        .address_space:  global
        .offset:         72
        .size:           8
        .value_kind:     global_buffer
      - .offset:         80
        .size:           4
        .value_kind:     by_value
      - .address_space:  global
        .offset:         88
        .size:           8
        .value_kind:     global_buffer
      - .offset:         96
        .size:           4
        .value_kind:     by_value
      - .offset:         100
        .size:           4
        .value_kind:     by_value
      - .offset:         104
        .size:           4
        .value_kind:     by_value
      - .offset:         108
        .size:           1
        .value_kind:     by_value
    .group_segment_fixed_size: 256
    .kernarg_segment_align: 8
    .kernarg_segment_size: 112
    .language:       OpenCL C
    .language_version:
      - 2
      - 0
    .max_flat_workgroup_size: 1024
    .name:           _ZN9rocsparseL12csrsv_kernelILj1024ELj32ELb0EiidEEvT3_NS_24const_host_device_scalarIT4_EEPKT2_PKS1_PKS3_SB_lPS3_PiS9_iPS1_21rocsparse_index_base_20rocsparse_fill_mode_20rocsparse_diag_type_b
    .private_segment_fixed_size: 0
    .sgpr_count:     44
    .sgpr_spill_count: 0
    .symbol:         _ZN9rocsparseL12csrsv_kernelILj1024ELj32ELb0EiidEEvT3_NS_24const_host_device_scalarIT4_EEPKT2_PKS1_PKS3_SB_lPS3_PiS9_iPS1_21rocsparse_index_base_20rocsparse_fill_mode_20rocsparse_diag_type_b.kd
    .uniform_work_group_size: 1
    .uses_dynamic_stack: false
    .vgpr_count:     20
    .vgpr_spill_count: 0
    .wavefront_size: 64
  - .agpr_count:     0
    .args:
      - .offset:         0
        .size:           4
        .value_kind:     by_value
      - .offset:         8
        .size:           8
        .value_kind:     by_value
      - .actual_access:  read_only
        .address_space:  global
        .offset:         16
        .size:           8
        .value_kind:     global_buffer
      - .actual_access:  read_only
        .address_space:  global
        .offset:         24
        .size:           8
        .value_kind:     global_buffer
      - .actual_access:  read_only
        .address_space:  global
        .offset:         32
        .size:           8
        .value_kind:     global_buffer
      - .actual_access:  read_only
        .address_space:  global
        .offset:         40
        .size:           8
        .value_kind:     global_buffer
      - .offset:         48
        .size:           8
        .value_kind:     by_value
      - .address_space:  global
        .offset:         56
        .size:           8
        .value_kind:     global_buffer
      - .address_space:  global
        .offset:         64
        .size:           8
        .value_kind:     global_buffer
      - .actual_access:  read_only
        .address_space:  global
        .offset:         72
        .size:           8
        .value_kind:     global_buffer
      - .offset:         80
        .size:           4
        .value_kind:     by_value
      - .address_space:  global
        .offset:         88
        .size:           8
        .value_kind:     global_buffer
      - .offset:         96
        .size:           4
        .value_kind:     by_value
      - .offset:         100
        .size:           4
        .value_kind:     by_value
      - .offset:         104
        .size:           4
        .value_kind:     by_value
      - .offset:         108
        .size:           1
        .value_kind:     by_value
    .group_segment_fixed_size: 128
    .kernarg_segment_align: 8
    .kernarg_segment_size: 112
    .language:       OpenCL C
    .language_version:
      - 2
      - 0
    .max_flat_workgroup_size: 1024
    .name:           _ZN9rocsparseL12csrsv_kernelILj1024ELj64ELb0EiidEEvT3_NS_24const_host_device_scalarIT4_EEPKT2_PKS1_PKS3_SB_lPS3_PiS9_iPS1_21rocsparse_index_base_20rocsparse_fill_mode_20rocsparse_diag_type_b
    .private_segment_fixed_size: 0
    .sgpr_count:     44
    .sgpr_spill_count: 0
    .symbol:         _ZN9rocsparseL12csrsv_kernelILj1024ELj64ELb0EiidEEvT3_NS_24const_host_device_scalarIT4_EEPKT2_PKS1_PKS3_SB_lPS3_PiS9_iPS1_21rocsparse_index_base_20rocsparse_fill_mode_20rocsparse_diag_type_b.kd
    .uniform_work_group_size: 1
    .uses_dynamic_stack: false
    .vgpr_count:     20
    .vgpr_spill_count: 0
    .wavefront_size: 64
  - .agpr_count:     0
    .args:
      - .offset:         0
        .size:           4
        .value_kind:     by_value
      - .offset:         8
        .size:           8
        .value_kind:     by_value
      - .actual_access:  read_only
        .address_space:  global
        .offset:         16
        .size:           8
        .value_kind:     global_buffer
      - .actual_access:  read_only
        .address_space:  global
        .offset:         24
        .size:           8
        .value_kind:     global_buffer
      - .actual_access:  read_only
        .address_space:  global
        .offset:         32
        .size:           8
        .value_kind:     global_buffer
      - .actual_access:  read_only
        .address_space:  global
        .offset:         40
        .size:           8
        .value_kind:     global_buffer
      - .offset:         48
        .size:           8
        .value_kind:     by_value
      - .address_space:  global
        .offset:         56
        .size:           8
        .value_kind:     global_buffer
      - .address_space:  global
        .offset:         64
        .size:           8
        .value_kind:     global_buffer
      - .actual_access:  read_only
        .address_space:  global
        .offset:         72
        .size:           8
        .value_kind:     global_buffer
      - .offset:         80
        .size:           4
        .value_kind:     by_value
      - .address_space:  global
        .offset:         88
        .size:           8
        .value_kind:     global_buffer
      - .offset:         96
        .size:           4
        .value_kind:     by_value
      - .offset:         100
        .size:           4
        .value_kind:     by_value
      - .offset:         104
        .size:           4
        .value_kind:     by_value
      - .offset:         108
        .size:           1
        .value_kind:     by_value
    .group_segment_fixed_size: 128
    .kernarg_segment_align: 8
    .kernarg_segment_size: 112
    .language:       OpenCL C
    .language_version:
      - 2
      - 0
    .max_flat_workgroup_size: 1024
    .name:           _ZN9rocsparseL12csrsv_kernelILj1024ELj64ELb1Eii21rocsparse_complex_numIfEEEvT3_NS_24const_host_device_scalarIT4_EEPKT2_PKS3_PKS5_SD_lPS5_PiSB_iPS3_21rocsparse_index_base_20rocsparse_fill_mode_20rocsparse_diag_type_b
    .private_segment_fixed_size: 0
    .sgpr_count:     44
    .sgpr_spill_count: 0
    .symbol:         _ZN9rocsparseL12csrsv_kernelILj1024ELj64ELb1Eii21rocsparse_complex_numIfEEEvT3_NS_24const_host_device_scalarIT4_EEPKT2_PKS3_PKS5_SD_lPS5_PiSB_iPS3_21rocsparse_index_base_20rocsparse_fill_mode_20rocsparse_diag_type_b.kd
    .uniform_work_group_size: 1
    .uses_dynamic_stack: false
    .vgpr_count:     16
    .vgpr_spill_count: 0
    .wavefront_size: 64
  - .agpr_count:     0
    .args:
      - .offset:         0
        .size:           4
        .value_kind:     by_value
      - .offset:         8
        .size:           8
        .value_kind:     by_value
      - .actual_access:  read_only
        .address_space:  global
        .offset:         16
        .size:           8
        .value_kind:     global_buffer
      - .actual_access:  read_only
        .address_space:  global
        .offset:         24
        .size:           8
        .value_kind:     global_buffer
      - .actual_access:  read_only
        .address_space:  global
        .offset:         32
        .size:           8
        .value_kind:     global_buffer
      - .actual_access:  read_only
        .address_space:  global
        .offset:         40
        .size:           8
        .value_kind:     global_buffer
      - .offset:         48
        .size:           8
        .value_kind:     by_value
      - .address_space:  global
        .offset:         56
        .size:           8
        .value_kind:     global_buffer
      - .address_space:  global
        .offset:         64
        .size:           8
        .value_kind:     global_buffer
      - .actual_access:  read_only
        .address_space:  global
        .offset:         72
        .size:           8
        .value_kind:     global_buffer
      - .offset:         80
        .size:           4
        .value_kind:     by_value
      - .address_space:  global
        .offset:         88
        .size:           8
        .value_kind:     global_buffer
      - .offset:         96
        .size:           4
        .value_kind:     by_value
      - .offset:         100
        .size:           4
        .value_kind:     by_value
      - .offset:         104
        .size:           4
        .value_kind:     by_value
      - .offset:         108
        .size:           1
        .value_kind:     by_value
    .group_segment_fixed_size: 256
    .kernarg_segment_align: 8
    .kernarg_segment_size: 112
    .language:       OpenCL C
    .language_version:
      - 2
      - 0
    .max_flat_workgroup_size: 1024
    .name:           _ZN9rocsparseL12csrsv_kernelILj1024ELj32ELb0Eii21rocsparse_complex_numIfEEEvT3_NS_24const_host_device_scalarIT4_EEPKT2_PKS3_PKS5_SD_lPS5_PiSB_iPS3_21rocsparse_index_base_20rocsparse_fill_mode_20rocsparse_diag_type_b
    .private_segment_fixed_size: 0
    .sgpr_count:     44
    .sgpr_spill_count: 0
    .symbol:         _ZN9rocsparseL12csrsv_kernelILj1024ELj32ELb0Eii21rocsparse_complex_numIfEEEvT3_NS_24const_host_device_scalarIT4_EEPKT2_PKS3_PKS5_SD_lPS5_PiSB_iPS3_21rocsparse_index_base_20rocsparse_fill_mode_20rocsparse_diag_type_b.kd
    .uniform_work_group_size: 1
    .uses_dynamic_stack: false
    .vgpr_count:     16
    .vgpr_spill_count: 0
    .wavefront_size: 64
  - .agpr_count:     0
    .args:
      - .offset:         0
        .size:           4
        .value_kind:     by_value
      - .offset:         8
        .size:           8
        .value_kind:     by_value
      - .actual_access:  read_only
        .address_space:  global
        .offset:         16
        .size:           8
        .value_kind:     global_buffer
      - .actual_access:  read_only
        .address_space:  global
        .offset:         24
        .size:           8
        .value_kind:     global_buffer
      - .actual_access:  read_only
        .address_space:  global
        .offset:         32
        .size:           8
        .value_kind:     global_buffer
      - .actual_access:  read_only
        .address_space:  global
        .offset:         40
        .size:           8
        .value_kind:     global_buffer
      - .offset:         48
        .size:           8
        .value_kind:     by_value
      - .address_space:  global
        .offset:         56
        .size:           8
        .value_kind:     global_buffer
      - .address_space:  global
        .offset:         64
        .size:           8
        .value_kind:     global_buffer
      - .actual_access:  read_only
        .address_space:  global
        .offset:         72
        .size:           8
        .value_kind:     global_buffer
      - .offset:         80
        .size:           4
        .value_kind:     by_value
      - .address_space:  global
        .offset:         88
        .size:           8
        .value_kind:     global_buffer
      - .offset:         96
        .size:           4
        .value_kind:     by_value
      - .offset:         100
        .size:           4
        .value_kind:     by_value
      - .offset:         104
        .size:           4
        .value_kind:     by_value
      - .offset:         108
        .size:           1
        .value_kind:     by_value
    .group_segment_fixed_size: 128
    .kernarg_segment_align: 8
    .kernarg_segment_size: 112
    .language:       OpenCL C
    .language_version:
      - 2
      - 0
    .max_flat_workgroup_size: 1024
    .name:           _ZN9rocsparseL12csrsv_kernelILj1024ELj64ELb0Eii21rocsparse_complex_numIfEEEvT3_NS_24const_host_device_scalarIT4_EEPKT2_PKS3_PKS5_SD_lPS5_PiSB_iPS3_21rocsparse_index_base_20rocsparse_fill_mode_20rocsparse_diag_type_b
    .private_segment_fixed_size: 0
    .sgpr_count:     44
    .sgpr_spill_count: 0
    .symbol:         _ZN9rocsparseL12csrsv_kernelILj1024ELj64ELb0Eii21rocsparse_complex_numIfEEEvT3_NS_24const_host_device_scalarIT4_EEPKT2_PKS3_PKS5_SD_lPS5_PiSB_iPS3_21rocsparse_index_base_20rocsparse_fill_mode_20rocsparse_diag_type_b.kd
    .uniform_work_group_size: 1
    .uses_dynamic_stack: false
    .vgpr_count:     16
    .vgpr_spill_count: 0
    .wavefront_size: 64
  - .agpr_count:     0
    .args:
      - .offset:         0
        .size:           4
        .value_kind:     by_value
      - .offset:         8
        .size:           16
        .value_kind:     by_value
      - .actual_access:  read_only
        .address_space:  global
        .offset:         24
        .size:           8
        .value_kind:     global_buffer
      - .actual_access:  read_only
        .address_space:  global
        .offset:         32
        .size:           8
        .value_kind:     global_buffer
      - .actual_access:  read_only
        .address_space:  global
        .offset:         40
        .size:           8
        .value_kind:     global_buffer
      - .actual_access:  read_only
        .address_space:  global
        .offset:         48
        .size:           8
        .value_kind:     global_buffer
      - .offset:         56
        .size:           8
        .value_kind:     by_value
      - .address_space:  global
        .offset:         64
        .size:           8
        .value_kind:     global_buffer
      - .address_space:  global
        .offset:         72
        .size:           8
        .value_kind:     global_buffer
      - .actual_access:  read_only
        .address_space:  global
        .offset:         80
        .size:           8
        .value_kind:     global_buffer
      - .offset:         88
        .size:           4
        .value_kind:     by_value
      - .address_space:  global
        .offset:         96
        .size:           8
        .value_kind:     global_buffer
      - .offset:         104
        .size:           4
        .value_kind:     by_value
      - .offset:         108
        .size:           4
        .value_kind:     by_value
      - .offset:         112
        .size:           4
        .value_kind:     by_value
      - .offset:         116
        .size:           1
        .value_kind:     by_value
    .group_segment_fixed_size: 8448
    .kernarg_segment_align: 8
    .kernarg_segment_size: 120
    .language:       OpenCL C
    .language_version:
      - 2
      - 0
    .max_flat_workgroup_size: 1024
    .name:           _ZN9rocsparseL12csrsv_kernelILj1024ELj64ELb1Eii21rocsparse_complex_numIdEEEvT3_NS_24const_host_device_scalarIT4_EEPKT2_PKS3_PKS5_SD_lPS5_PiSB_iPS3_21rocsparse_index_base_20rocsparse_fill_mode_20rocsparse_diag_type_b
    .private_segment_fixed_size: 0
    .sgpr_count:     44
    .sgpr_spill_count: 0
    .symbol:         _ZN9rocsparseL12csrsv_kernelILj1024ELj64ELb1Eii21rocsparse_complex_numIdEEEvT3_NS_24const_host_device_scalarIT4_EEPKT2_PKS3_PKS5_SD_lPS5_PiSB_iPS3_21rocsparse_index_base_20rocsparse_fill_mode_20rocsparse_diag_type_b.kd
    .uniform_work_group_size: 1
    .uses_dynamic_stack: false
    .vgpr_count:     26
    .vgpr_spill_count: 0
    .wavefront_size: 64
  - .agpr_count:     0
    .args:
      - .offset:         0
        .size:           4
        .value_kind:     by_value
      - .offset:         8
        .size:           16
        .value_kind:     by_value
      - .actual_access:  read_only
        .address_space:  global
        .offset:         24
        .size:           8
        .value_kind:     global_buffer
      - .actual_access:  read_only
        .address_space:  global
        .offset:         32
        .size:           8
        .value_kind:     global_buffer
      - .actual_access:  read_only
        .address_space:  global
        .offset:         40
        .size:           8
        .value_kind:     global_buffer
      - .actual_access:  read_only
        .address_space:  global
        .offset:         48
        .size:           8
        .value_kind:     global_buffer
      - .offset:         56
        .size:           8
        .value_kind:     by_value
      - .address_space:  global
        .offset:         64
        .size:           8
        .value_kind:     global_buffer
      - .address_space:  global
        .offset:         72
        .size:           8
        .value_kind:     global_buffer
      - .actual_access:  read_only
        .address_space:  global
        .offset:         80
        .size:           8
        .value_kind:     global_buffer
      - .offset:         88
        .size:           4
        .value_kind:     by_value
      - .address_space:  global
        .offset:         96
        .size:           8
        .value_kind:     global_buffer
      - .offset:         104
        .size:           4
        .value_kind:     by_value
      - .offset:         108
        .size:           4
        .value_kind:     by_value
      - .offset:         112
        .size:           4
        .value_kind:     by_value
      - .offset:         116
        .size:           1
        .value_kind:     by_value
    .group_segment_fixed_size: 8704
    .kernarg_segment_align: 8
    .kernarg_segment_size: 120
    .language:       OpenCL C
    .language_version:
      - 2
      - 0
    .max_flat_workgroup_size: 1024
    .name:           _ZN9rocsparseL12csrsv_kernelILj1024ELj32ELb0Eii21rocsparse_complex_numIdEEEvT3_NS_24const_host_device_scalarIT4_EEPKT2_PKS3_PKS5_SD_lPS5_PiSB_iPS3_21rocsparse_index_base_20rocsparse_fill_mode_20rocsparse_diag_type_b
    .private_segment_fixed_size: 0
    .sgpr_count:     44
    .sgpr_spill_count: 0
    .symbol:         _ZN9rocsparseL12csrsv_kernelILj1024ELj32ELb0Eii21rocsparse_complex_numIdEEEvT3_NS_24const_host_device_scalarIT4_EEPKT2_PKS3_PKS5_SD_lPS5_PiSB_iPS3_21rocsparse_index_base_20rocsparse_fill_mode_20rocsparse_diag_type_b.kd
    .uniform_work_group_size: 1
    .uses_dynamic_stack: false
    .vgpr_count:     26
    .vgpr_spill_count: 0
    .wavefront_size: 64
  - .agpr_count:     0
    .args:
      - .offset:         0
        .size:           4
        .value_kind:     by_value
      - .offset:         8
        .size:           16
        .value_kind:     by_value
      - .actual_access:  read_only
        .address_space:  global
        .offset:         24
        .size:           8
        .value_kind:     global_buffer
      - .actual_access:  read_only
        .address_space:  global
        .offset:         32
        .size:           8
        .value_kind:     global_buffer
      - .actual_access:  read_only
        .address_space:  global
        .offset:         40
        .size:           8
        .value_kind:     global_buffer
      - .actual_access:  read_only
        .address_space:  global
        .offset:         48
        .size:           8
        .value_kind:     global_buffer
      - .offset:         56
        .size:           8
        .value_kind:     by_value
      - .address_space:  global
        .offset:         64
        .size:           8
        .value_kind:     global_buffer
      - .address_space:  global
        .offset:         72
        .size:           8
        .value_kind:     global_buffer
      - .actual_access:  read_only
        .address_space:  global
        .offset:         80
        .size:           8
        .value_kind:     global_buffer
      - .offset:         88
        .size:           4
        .value_kind:     by_value
      - .address_space:  global
        .offset:         96
        .size:           8
        .value_kind:     global_buffer
      - .offset:         104
        .size:           4
        .value_kind:     by_value
      - .offset:         108
        .size:           4
        .value_kind:     by_value
      - .offset:         112
        .size:           4
        .value_kind:     by_value
      - .offset:         116
        .size:           1
        .value_kind:     by_value
    .group_segment_fixed_size: 8448
    .kernarg_segment_align: 8
    .kernarg_segment_size: 120
    .language:       OpenCL C
    .language_version:
      - 2
      - 0
    .max_flat_workgroup_size: 1024
    .name:           _ZN9rocsparseL12csrsv_kernelILj1024ELj64ELb0Eii21rocsparse_complex_numIdEEEvT3_NS_24const_host_device_scalarIT4_EEPKT2_PKS3_PKS5_SD_lPS5_PiSB_iPS3_21rocsparse_index_base_20rocsparse_fill_mode_20rocsparse_diag_type_b
    .private_segment_fixed_size: 0
    .sgpr_count:     44
    .sgpr_spill_count: 0
    .symbol:         _ZN9rocsparseL12csrsv_kernelILj1024ELj64ELb0Eii21rocsparse_complex_numIdEEEvT3_NS_24const_host_device_scalarIT4_EEPKT2_PKS3_PKS5_SD_lPS5_PiSB_iPS3_21rocsparse_index_base_20rocsparse_fill_mode_20rocsparse_diag_type_b.kd
    .uniform_work_group_size: 1
    .uses_dynamic_stack: false
    .vgpr_count:     26
    .vgpr_spill_count: 0
    .wavefront_size: 64
  - .agpr_count:     0
    .args:
      - .offset:         0
        .size:           4
        .value_kind:     by_value
      - .offset:         8
        .size:           8
        .value_kind:     by_value
      - .actual_access:  read_only
        .address_space:  global
        .offset:         16
        .size:           8
        .value_kind:     global_buffer
      - .actual_access:  read_only
        .address_space:  global
        .offset:         24
        .size:           8
        .value_kind:     global_buffer
      - .actual_access:  read_only
        .address_space:  global
        .offset:         32
        .size:           8
        .value_kind:     global_buffer
      - .actual_access:  read_only
        .address_space:  global
        .offset:         40
        .size:           8
        .value_kind:     global_buffer
      - .offset:         48
        .size:           8
        .value_kind:     by_value
      - .address_space:  global
        .offset:         56
        .size:           8
        .value_kind:     global_buffer
      - .address_space:  global
        .offset:         64
        .size:           8
        .value_kind:     global_buffer
      - .actual_access:  read_only
        .address_space:  global
        .offset:         72
        .size:           8
        .value_kind:     global_buffer
      - .offset:         80
        .size:           4
        .value_kind:     by_value
      - .address_space:  global
        .offset:         88
        .size:           8
        .value_kind:     global_buffer
      - .offset:         96
        .size:           4
        .value_kind:     by_value
      - .offset:         100
        .size:           4
        .value_kind:     by_value
      - .offset:         104
        .size:           4
        .value_kind:     by_value
      - .offset:         108
        .size:           1
        .value_kind:     by_value
    .group_segment_fixed_size: 64
    .kernarg_segment_align: 8
    .kernarg_segment_size: 112
    .language:       OpenCL C
    .language_version:
      - 2
      - 0
    .max_flat_workgroup_size: 1024
    .name:           _ZN9rocsparseL12csrsv_kernelILj1024ELj64ELb1ElifEEvT3_NS_24const_host_device_scalarIT4_EEPKT2_PKS1_PKS3_SB_lPS3_PiS9_iPS1_21rocsparse_index_base_20rocsparse_fill_mode_20rocsparse_diag_type_b
    .private_segment_fixed_size: 0
    .sgpr_count:     43
    .sgpr_spill_count: 0
    .symbol:         _ZN9rocsparseL12csrsv_kernelILj1024ELj64ELb1ElifEEvT3_NS_24const_host_device_scalarIT4_EEPKT2_PKS1_PKS3_SB_lPS3_PiS9_iPS1_21rocsparse_index_base_20rocsparse_fill_mode_20rocsparse_diag_type_b.kd
    .uniform_work_group_size: 1
    .uses_dynamic_stack: false
    .vgpr_count:     14
    .vgpr_spill_count: 0
    .wavefront_size: 64
  - .agpr_count:     0
    .args:
      - .offset:         0
        .size:           4
        .value_kind:     by_value
      - .offset:         8
        .size:           8
        .value_kind:     by_value
      - .actual_access:  read_only
        .address_space:  global
        .offset:         16
        .size:           8
        .value_kind:     global_buffer
      - .actual_access:  read_only
        .address_space:  global
        .offset:         24
        .size:           8
        .value_kind:     global_buffer
      - .actual_access:  read_only
        .address_space:  global
        .offset:         32
        .size:           8
        .value_kind:     global_buffer
      - .actual_access:  read_only
        .address_space:  global
        .offset:         40
        .size:           8
        .value_kind:     global_buffer
      - .offset:         48
        .size:           8
        .value_kind:     by_value
      - .address_space:  global
        .offset:         56
        .size:           8
        .value_kind:     global_buffer
      - .address_space:  global
        .offset:         64
        .size:           8
        .value_kind:     global_buffer
      - .actual_access:  read_only
        .address_space:  global
        .offset:         72
        .size:           8
        .value_kind:     global_buffer
      - .offset:         80
        .size:           4
        .value_kind:     by_value
      - .address_space:  global
        .offset:         88
        .size:           8
        .value_kind:     global_buffer
      - .offset:         96
        .size:           4
        .value_kind:     by_value
      - .offset:         100
        .size:           4
        .value_kind:     by_value
      - .offset:         104
        .size:           4
        .value_kind:     by_value
      - .offset:         108
        .size:           1
        .value_kind:     by_value
    .group_segment_fixed_size: 128
    .kernarg_segment_align: 8
    .kernarg_segment_size: 112
    .language:       OpenCL C
    .language_version:
      - 2
      - 0
    .max_flat_workgroup_size: 1024
    .name:           _ZN9rocsparseL12csrsv_kernelILj1024ELj32ELb0ElifEEvT3_NS_24const_host_device_scalarIT4_EEPKT2_PKS1_PKS3_SB_lPS3_PiS9_iPS1_21rocsparse_index_base_20rocsparse_fill_mode_20rocsparse_diag_type_b
    .private_segment_fixed_size: 0
    .sgpr_count:     43
    .sgpr_spill_count: 0
    .symbol:         _ZN9rocsparseL12csrsv_kernelILj1024ELj32ELb0ElifEEvT3_NS_24const_host_device_scalarIT4_EEPKT2_PKS1_PKS3_SB_lPS3_PiS9_iPS1_21rocsparse_index_base_20rocsparse_fill_mode_20rocsparse_diag_type_b.kd
    .uniform_work_group_size: 1
    .uses_dynamic_stack: false
    .vgpr_count:     14
    .vgpr_spill_count: 0
    .wavefront_size: 64
  - .agpr_count:     0
    .args:
      - .offset:         0
        .size:           4
        .value_kind:     by_value
      - .offset:         8
        .size:           8
        .value_kind:     by_value
      - .actual_access:  read_only
        .address_space:  global
        .offset:         16
        .size:           8
        .value_kind:     global_buffer
      - .actual_access:  read_only
        .address_space:  global
        .offset:         24
        .size:           8
        .value_kind:     global_buffer
      - .actual_access:  read_only
        .address_space:  global
        .offset:         32
        .size:           8
        .value_kind:     global_buffer
      - .actual_access:  read_only
        .address_space:  global
        .offset:         40
        .size:           8
        .value_kind:     global_buffer
      - .offset:         48
        .size:           8
        .value_kind:     by_value
      - .address_space:  global
        .offset:         56
        .size:           8
        .value_kind:     global_buffer
      - .address_space:  global
        .offset:         64
        .size:           8
        .value_kind:     global_buffer
      - .actual_access:  read_only
        .address_space:  global
        .offset:         72
        .size:           8
        .value_kind:     global_buffer
      - .offset:         80
        .size:           4
        .value_kind:     by_value
      - .address_space:  global
        .offset:         88
        .size:           8
        .value_kind:     global_buffer
      - .offset:         96
        .size:           4
        .value_kind:     by_value
      - .offset:         100
        .size:           4
        .value_kind:     by_value
      - .offset:         104
        .size:           4
        .value_kind:     by_value
      - .offset:         108
        .size:           1
        .value_kind:     by_value
    .group_segment_fixed_size: 64
    .kernarg_segment_align: 8
    .kernarg_segment_size: 112
    .language:       OpenCL C
    .language_version:
      - 2
      - 0
    .max_flat_workgroup_size: 1024
    .name:           _ZN9rocsparseL12csrsv_kernelILj1024ELj64ELb0ElifEEvT3_NS_24const_host_device_scalarIT4_EEPKT2_PKS1_PKS3_SB_lPS3_PiS9_iPS1_21rocsparse_index_base_20rocsparse_fill_mode_20rocsparse_diag_type_b
    .private_segment_fixed_size: 0
    .sgpr_count:     43
    .sgpr_spill_count: 0
    .symbol:         _ZN9rocsparseL12csrsv_kernelILj1024ELj64ELb0ElifEEvT3_NS_24const_host_device_scalarIT4_EEPKT2_PKS1_PKS3_SB_lPS3_PiS9_iPS1_21rocsparse_index_base_20rocsparse_fill_mode_20rocsparse_diag_type_b.kd
    .uniform_work_group_size: 1
    .uses_dynamic_stack: false
    .vgpr_count:     14
    .vgpr_spill_count: 0
    .wavefront_size: 64
  - .agpr_count:     0
    .args:
      - .offset:         0
        .size:           4
        .value_kind:     by_value
      - .offset:         8
        .size:           8
        .value_kind:     by_value
      - .actual_access:  read_only
        .address_space:  global
        .offset:         16
        .size:           8
        .value_kind:     global_buffer
      - .actual_access:  read_only
        .address_space:  global
        .offset:         24
        .size:           8
        .value_kind:     global_buffer
      - .actual_access:  read_only
        .address_space:  global
        .offset:         32
        .size:           8
        .value_kind:     global_buffer
      - .actual_access:  read_only
        .address_space:  global
        .offset:         40
        .size:           8
        .value_kind:     global_buffer
      - .offset:         48
        .size:           8
        .value_kind:     by_value
      - .address_space:  global
        .offset:         56
        .size:           8
        .value_kind:     global_buffer
      - .address_space:  global
        .offset:         64
        .size:           8
        .value_kind:     global_buffer
      - .actual_access:  read_only
        .address_space:  global
        .offset:         72
        .size:           8
        .value_kind:     global_buffer
      - .offset:         80
        .size:           4
        .value_kind:     by_value
      - .address_space:  global
        .offset:         88
        .size:           8
        .value_kind:     global_buffer
      - .offset:         96
        .size:           4
        .value_kind:     by_value
      - .offset:         100
        .size:           4
        .value_kind:     by_value
      - .offset:         104
        .size:           4
        .value_kind:     by_value
      - .offset:         108
        .size:           1
        .value_kind:     by_value
    .group_segment_fixed_size: 128
    .kernarg_segment_align: 8
    .kernarg_segment_size: 112
    .language:       OpenCL C
    .language_version:
      - 2
      - 0
    .max_flat_workgroup_size: 1024
    .name:           _ZN9rocsparseL12csrsv_kernelILj1024ELj64ELb1ElidEEvT3_NS_24const_host_device_scalarIT4_EEPKT2_PKS1_PKS3_SB_lPS3_PiS9_iPS1_21rocsparse_index_base_20rocsparse_fill_mode_20rocsparse_diag_type_b
    .private_segment_fixed_size: 0
    .sgpr_count:     45
    .sgpr_spill_count: 0
    .symbol:         _ZN9rocsparseL12csrsv_kernelILj1024ELj64ELb1ElidEEvT3_NS_24const_host_device_scalarIT4_EEPKT2_PKS1_PKS3_SB_lPS3_PiS9_iPS1_21rocsparse_index_base_20rocsparse_fill_mode_20rocsparse_diag_type_b.kd
    .uniform_work_group_size: 1
    .uses_dynamic_stack: false
    .vgpr_count:     20
    .vgpr_spill_count: 0
    .wavefront_size: 64
  - .agpr_count:     0
    .args:
      - .offset:         0
        .size:           4
        .value_kind:     by_value
      - .offset:         8
        .size:           8
        .value_kind:     by_value
      - .actual_access:  read_only
        .address_space:  global
        .offset:         16
        .size:           8
        .value_kind:     global_buffer
      - .actual_access:  read_only
        .address_space:  global
        .offset:         24
        .size:           8
        .value_kind:     global_buffer
      - .actual_access:  read_only
        .address_space:  global
        .offset:         32
        .size:           8
        .value_kind:     global_buffer
      - .actual_access:  read_only
        .address_space:  global
        .offset:         40
        .size:           8
        .value_kind:     global_buffer
      - .offset:         48
        .size:           8
        .value_kind:     by_value
      - .address_space:  global
        .offset:         56
        .size:           8
        .value_kind:     global_buffer
      - .address_space:  global
        .offset:         64
        .size:           8
        .value_kind:     global_buffer
      - .actual_access:  read_only
        .address_space:  global
        .offset:         72
        .size:           8
        .value_kind:     global_buffer
      - .offset:         80
        .size:           4
        .value_kind:     by_value
      - .address_space:  global
        .offset:         88
        .size:           8
        .value_kind:     global_buffer
      - .offset:         96
        .size:           4
        .value_kind:     by_value
      - .offset:         100
        .size:           4
        .value_kind:     by_value
      - .offset:         104
        .size:           4
        .value_kind:     by_value
      - .offset:         108
        .size:           1
        .value_kind:     by_value
    .group_segment_fixed_size: 256
    .kernarg_segment_align: 8
    .kernarg_segment_size: 112
    .language:       OpenCL C
    .language_version:
      - 2
      - 0
    .max_flat_workgroup_size: 1024
    .name:           _ZN9rocsparseL12csrsv_kernelILj1024ELj32ELb0ElidEEvT3_NS_24const_host_device_scalarIT4_EEPKT2_PKS1_PKS3_SB_lPS3_PiS9_iPS1_21rocsparse_index_base_20rocsparse_fill_mode_20rocsparse_diag_type_b
    .private_segment_fixed_size: 0
    .sgpr_count:     45
    .sgpr_spill_count: 0
    .symbol:         _ZN9rocsparseL12csrsv_kernelILj1024ELj32ELb0ElidEEvT3_NS_24const_host_device_scalarIT4_EEPKT2_PKS1_PKS3_SB_lPS3_PiS9_iPS1_21rocsparse_index_base_20rocsparse_fill_mode_20rocsparse_diag_type_b.kd
    .uniform_work_group_size: 1
    .uses_dynamic_stack: false
    .vgpr_count:     20
    .vgpr_spill_count: 0
    .wavefront_size: 64
  - .agpr_count:     0
    .args:
      - .offset:         0
        .size:           4
        .value_kind:     by_value
      - .offset:         8
        .size:           8
        .value_kind:     by_value
      - .actual_access:  read_only
        .address_space:  global
        .offset:         16
        .size:           8
        .value_kind:     global_buffer
      - .actual_access:  read_only
        .address_space:  global
        .offset:         24
        .size:           8
        .value_kind:     global_buffer
      - .actual_access:  read_only
        .address_space:  global
        .offset:         32
        .size:           8
        .value_kind:     global_buffer
      - .actual_access:  read_only
        .address_space:  global
        .offset:         40
        .size:           8
        .value_kind:     global_buffer
      - .offset:         48
        .size:           8
        .value_kind:     by_value
      - .address_space:  global
        .offset:         56
        .size:           8
        .value_kind:     global_buffer
      - .address_space:  global
        .offset:         64
        .size:           8
        .value_kind:     global_buffer
      - .actual_access:  read_only
        .address_space:  global
        .offset:         72
        .size:           8
        .value_kind:     global_buffer
      - .offset:         80
        .size:           4
        .value_kind:     by_value
      - .address_space:  global
        .offset:         88
        .size:           8
        .value_kind:     global_buffer
      - .offset:         96
        .size:           4
        .value_kind:     by_value
      - .offset:         100
        .size:           4
        .value_kind:     by_value
      - .offset:         104
        .size:           4
        .value_kind:     by_value
      - .offset:         108
        .size:           1
        .value_kind:     by_value
    .group_segment_fixed_size: 128
    .kernarg_segment_align: 8
    .kernarg_segment_size: 112
    .language:       OpenCL C
    .language_version:
      - 2
      - 0
    .max_flat_workgroup_size: 1024
    .name:           _ZN9rocsparseL12csrsv_kernelILj1024ELj64ELb0ElidEEvT3_NS_24const_host_device_scalarIT4_EEPKT2_PKS1_PKS3_SB_lPS3_PiS9_iPS1_21rocsparse_index_base_20rocsparse_fill_mode_20rocsparse_diag_type_b
    .private_segment_fixed_size: 0
    .sgpr_count:     45
    .sgpr_spill_count: 0
    .symbol:         _ZN9rocsparseL12csrsv_kernelILj1024ELj64ELb0ElidEEvT3_NS_24const_host_device_scalarIT4_EEPKT2_PKS1_PKS3_SB_lPS3_PiS9_iPS1_21rocsparse_index_base_20rocsparse_fill_mode_20rocsparse_diag_type_b.kd
    .uniform_work_group_size: 1
    .uses_dynamic_stack: false
    .vgpr_count:     20
    .vgpr_spill_count: 0
    .wavefront_size: 64
  - .agpr_count:     0
    .args:
      - .offset:         0
        .size:           4
        .value_kind:     by_value
      - .offset:         8
        .size:           8
        .value_kind:     by_value
      - .actual_access:  read_only
        .address_space:  global
        .offset:         16
        .size:           8
        .value_kind:     global_buffer
      - .actual_access:  read_only
        .address_space:  global
        .offset:         24
        .size:           8
        .value_kind:     global_buffer
      - .actual_access:  read_only
        .address_space:  global
        .offset:         32
        .size:           8
        .value_kind:     global_buffer
      - .actual_access:  read_only
        .address_space:  global
        .offset:         40
        .size:           8
        .value_kind:     global_buffer
      - .offset:         48
        .size:           8
        .value_kind:     by_value
      - .address_space:  global
        .offset:         56
        .size:           8
        .value_kind:     global_buffer
      - .address_space:  global
        .offset:         64
        .size:           8
        .value_kind:     global_buffer
      - .actual_access:  read_only
        .address_space:  global
        .offset:         72
        .size:           8
        .value_kind:     global_buffer
      - .offset:         80
        .size:           4
        .value_kind:     by_value
      - .address_space:  global
        .offset:         88
        .size:           8
        .value_kind:     global_buffer
      - .offset:         96
        .size:           4
        .value_kind:     by_value
      - .offset:         100
        .size:           4
        .value_kind:     by_value
      - .offset:         104
        .size:           4
        .value_kind:     by_value
      - .offset:         108
        .size:           1
        .value_kind:     by_value
    .group_segment_fixed_size: 128
    .kernarg_segment_align: 8
    .kernarg_segment_size: 112
    .language:       OpenCL C
    .language_version:
      - 2
      - 0
    .max_flat_workgroup_size: 1024
    .name:           _ZN9rocsparseL12csrsv_kernelILj1024ELj64ELb1Eli21rocsparse_complex_numIfEEEvT3_NS_24const_host_device_scalarIT4_EEPKT2_PKS3_PKS5_SD_lPS5_PiSB_iPS3_21rocsparse_index_base_20rocsparse_fill_mode_20rocsparse_diag_type_b
    .private_segment_fixed_size: 0
    .sgpr_count:     45
    .sgpr_spill_count: 0
    .symbol:         _ZN9rocsparseL12csrsv_kernelILj1024ELj64ELb1Eli21rocsparse_complex_numIfEEEvT3_NS_24const_host_device_scalarIT4_EEPKT2_PKS3_PKS5_SD_lPS5_PiSB_iPS3_21rocsparse_index_base_20rocsparse_fill_mode_20rocsparse_diag_type_b.kd
    .uniform_work_group_size: 1
    .uses_dynamic_stack: false
    .vgpr_count:     17
    .vgpr_spill_count: 0
    .wavefront_size: 64
  - .agpr_count:     0
    .args:
      - .offset:         0
        .size:           4
        .value_kind:     by_value
      - .offset:         8
        .size:           8
        .value_kind:     by_value
      - .actual_access:  read_only
        .address_space:  global
        .offset:         16
        .size:           8
        .value_kind:     global_buffer
      - .actual_access:  read_only
        .address_space:  global
        .offset:         24
        .size:           8
        .value_kind:     global_buffer
      - .actual_access:  read_only
        .address_space:  global
        .offset:         32
        .size:           8
        .value_kind:     global_buffer
      - .actual_access:  read_only
        .address_space:  global
        .offset:         40
        .size:           8
        .value_kind:     global_buffer
      - .offset:         48
        .size:           8
        .value_kind:     by_value
      - .address_space:  global
        .offset:         56
        .size:           8
        .value_kind:     global_buffer
      - .address_space:  global
        .offset:         64
        .size:           8
        .value_kind:     global_buffer
      - .actual_access:  read_only
        .address_space:  global
        .offset:         72
        .size:           8
        .value_kind:     global_buffer
      - .offset:         80
        .size:           4
        .value_kind:     by_value
      - .address_space:  global
        .offset:         88
        .size:           8
        .value_kind:     global_buffer
      - .offset:         96
        .size:           4
        .value_kind:     by_value
      - .offset:         100
        .size:           4
        .value_kind:     by_value
      - .offset:         104
        .size:           4
        .value_kind:     by_value
      - .offset:         108
        .size:           1
        .value_kind:     by_value
    .group_segment_fixed_size: 256
    .kernarg_segment_align: 8
    .kernarg_segment_size: 112
    .language:       OpenCL C
    .language_version:
      - 2
      - 0
    .max_flat_workgroup_size: 1024
    .name:           _ZN9rocsparseL12csrsv_kernelILj1024ELj32ELb0Eli21rocsparse_complex_numIfEEEvT3_NS_24const_host_device_scalarIT4_EEPKT2_PKS3_PKS5_SD_lPS5_PiSB_iPS3_21rocsparse_index_base_20rocsparse_fill_mode_20rocsparse_diag_type_b
    .private_segment_fixed_size: 0
    .sgpr_count:     45
    .sgpr_spill_count: 0
    .symbol:         _ZN9rocsparseL12csrsv_kernelILj1024ELj32ELb0Eli21rocsparse_complex_numIfEEEvT3_NS_24const_host_device_scalarIT4_EEPKT2_PKS3_PKS5_SD_lPS5_PiSB_iPS3_21rocsparse_index_base_20rocsparse_fill_mode_20rocsparse_diag_type_b.kd
    .uniform_work_group_size: 1
    .uses_dynamic_stack: false
    .vgpr_count:     17
    .vgpr_spill_count: 0
    .wavefront_size: 64
  - .agpr_count:     0
    .args:
      - .offset:         0
        .size:           4
        .value_kind:     by_value
      - .offset:         8
        .size:           8
        .value_kind:     by_value
      - .actual_access:  read_only
        .address_space:  global
        .offset:         16
        .size:           8
        .value_kind:     global_buffer
      - .actual_access:  read_only
        .address_space:  global
        .offset:         24
        .size:           8
        .value_kind:     global_buffer
      - .actual_access:  read_only
        .address_space:  global
        .offset:         32
        .size:           8
        .value_kind:     global_buffer
      - .actual_access:  read_only
        .address_space:  global
        .offset:         40
        .size:           8
        .value_kind:     global_buffer
      - .offset:         48
        .size:           8
        .value_kind:     by_value
      - .address_space:  global
        .offset:         56
        .size:           8
        .value_kind:     global_buffer
      - .address_space:  global
        .offset:         64
        .size:           8
        .value_kind:     global_buffer
      - .actual_access:  read_only
        .address_space:  global
        .offset:         72
        .size:           8
        .value_kind:     global_buffer
      - .offset:         80
        .size:           4
        .value_kind:     by_value
      - .address_space:  global
        .offset:         88
        .size:           8
        .value_kind:     global_buffer
      - .offset:         96
        .size:           4
        .value_kind:     by_value
      - .offset:         100
        .size:           4
        .value_kind:     by_value
      - .offset:         104
        .size:           4
        .value_kind:     by_value
      - .offset:         108
        .size:           1
        .value_kind:     by_value
    .group_segment_fixed_size: 128
    .kernarg_segment_align: 8
    .kernarg_segment_size: 112
    .language:       OpenCL C
    .language_version:
      - 2
      - 0
    .max_flat_workgroup_size: 1024
    .name:           _ZN9rocsparseL12csrsv_kernelILj1024ELj64ELb0Eli21rocsparse_complex_numIfEEEvT3_NS_24const_host_device_scalarIT4_EEPKT2_PKS3_PKS5_SD_lPS5_PiSB_iPS3_21rocsparse_index_base_20rocsparse_fill_mode_20rocsparse_diag_type_b
    .private_segment_fixed_size: 0
    .sgpr_count:     45
    .sgpr_spill_count: 0
    .symbol:         _ZN9rocsparseL12csrsv_kernelILj1024ELj64ELb0Eli21rocsparse_complex_numIfEEEvT3_NS_24const_host_device_scalarIT4_EEPKT2_PKS3_PKS5_SD_lPS5_PiSB_iPS3_21rocsparse_index_base_20rocsparse_fill_mode_20rocsparse_diag_type_b.kd
    .uniform_work_group_size: 1
    .uses_dynamic_stack: false
    .vgpr_count:     17
    .vgpr_spill_count: 0
    .wavefront_size: 64
  - .agpr_count:     0
    .args:
      - .offset:         0
        .size:           4
        .value_kind:     by_value
      - .offset:         8
        .size:           16
        .value_kind:     by_value
      - .actual_access:  read_only
        .address_space:  global
        .offset:         24
        .size:           8
        .value_kind:     global_buffer
      - .actual_access:  read_only
        .address_space:  global
        .offset:         32
        .size:           8
        .value_kind:     global_buffer
      - .actual_access:  read_only
        .address_space:  global
        .offset:         40
        .size:           8
        .value_kind:     global_buffer
      - .actual_access:  read_only
        .address_space:  global
        .offset:         48
        .size:           8
        .value_kind:     global_buffer
      - .offset:         56
        .size:           8
        .value_kind:     by_value
      - .address_space:  global
        .offset:         64
        .size:           8
        .value_kind:     global_buffer
      - .address_space:  global
        .offset:         72
        .size:           8
        .value_kind:     global_buffer
      - .actual_access:  read_only
        .address_space:  global
        .offset:         80
        .size:           8
        .value_kind:     global_buffer
      - .offset:         88
        .size:           4
        .value_kind:     by_value
      - .address_space:  global
        .offset:         96
        .size:           8
        .value_kind:     global_buffer
      - .offset:         104
        .size:           4
        .value_kind:     by_value
      - .offset:         108
        .size:           4
        .value_kind:     by_value
      - .offset:         112
        .size:           4
        .value_kind:     by_value
      - .offset:         116
        .size:           1
        .value_kind:     by_value
    .group_segment_fixed_size: 8448
    .kernarg_segment_align: 8
    .kernarg_segment_size: 120
    .language:       OpenCL C
    .language_version:
      - 2
      - 0
    .max_flat_workgroup_size: 1024
    .name:           _ZN9rocsparseL12csrsv_kernelILj1024ELj64ELb1Eli21rocsparse_complex_numIdEEEvT3_NS_24const_host_device_scalarIT4_EEPKT2_PKS3_PKS5_SD_lPS5_PiSB_iPS3_21rocsparse_index_base_20rocsparse_fill_mode_20rocsparse_diag_type_b
    .private_segment_fixed_size: 0
    .sgpr_count:     43
    .sgpr_spill_count: 0
    .symbol:         _ZN9rocsparseL12csrsv_kernelILj1024ELj64ELb1Eli21rocsparse_complex_numIdEEEvT3_NS_24const_host_device_scalarIT4_EEPKT2_PKS3_PKS5_SD_lPS5_PiSB_iPS3_21rocsparse_index_base_20rocsparse_fill_mode_20rocsparse_diag_type_b.kd
    .uniform_work_group_size: 1
    .uses_dynamic_stack: false
    .vgpr_count:     26
    .vgpr_spill_count: 0
    .wavefront_size: 64
  - .agpr_count:     0
    .args:
      - .offset:         0
        .size:           4
        .value_kind:     by_value
      - .offset:         8
        .size:           16
        .value_kind:     by_value
      - .actual_access:  read_only
        .address_space:  global
        .offset:         24
        .size:           8
        .value_kind:     global_buffer
      - .actual_access:  read_only
        .address_space:  global
        .offset:         32
        .size:           8
        .value_kind:     global_buffer
      - .actual_access:  read_only
        .address_space:  global
        .offset:         40
        .size:           8
        .value_kind:     global_buffer
      - .actual_access:  read_only
        .address_space:  global
        .offset:         48
        .size:           8
        .value_kind:     global_buffer
      - .offset:         56
        .size:           8
        .value_kind:     by_value
      - .address_space:  global
        .offset:         64
        .size:           8
        .value_kind:     global_buffer
      - .address_space:  global
        .offset:         72
        .size:           8
        .value_kind:     global_buffer
      - .actual_access:  read_only
        .address_space:  global
        .offset:         80
        .size:           8
        .value_kind:     global_buffer
      - .offset:         88
        .size:           4
        .value_kind:     by_value
      - .address_space:  global
        .offset:         96
        .size:           8
        .value_kind:     global_buffer
      - .offset:         104
        .size:           4
        .value_kind:     by_value
      - .offset:         108
        .size:           4
        .value_kind:     by_value
      - .offset:         112
        .size:           4
        .value_kind:     by_value
      - .offset:         116
        .size:           1
        .value_kind:     by_value
    .group_segment_fixed_size: 8704
    .kernarg_segment_align: 8
    .kernarg_segment_size: 120
    .language:       OpenCL C
    .language_version:
      - 2
      - 0
    .max_flat_workgroup_size: 1024
    .name:           _ZN9rocsparseL12csrsv_kernelILj1024ELj32ELb0Eli21rocsparse_complex_numIdEEEvT3_NS_24const_host_device_scalarIT4_EEPKT2_PKS3_PKS5_SD_lPS5_PiSB_iPS3_21rocsparse_index_base_20rocsparse_fill_mode_20rocsparse_diag_type_b
    .private_segment_fixed_size: 0
    .sgpr_count:     43
    .sgpr_spill_count: 0
    .symbol:         _ZN9rocsparseL12csrsv_kernelILj1024ELj32ELb0Eli21rocsparse_complex_numIdEEEvT3_NS_24const_host_device_scalarIT4_EEPKT2_PKS3_PKS5_SD_lPS5_PiSB_iPS3_21rocsparse_index_base_20rocsparse_fill_mode_20rocsparse_diag_type_b.kd
    .uniform_work_group_size: 1
    .uses_dynamic_stack: false
    .vgpr_count:     26
    .vgpr_spill_count: 0
    .wavefront_size: 64
  - .agpr_count:     0
    .args:
      - .offset:         0
        .size:           4
        .value_kind:     by_value
      - .offset:         8
        .size:           16
        .value_kind:     by_value
      - .actual_access:  read_only
        .address_space:  global
        .offset:         24
        .size:           8
        .value_kind:     global_buffer
      - .actual_access:  read_only
        .address_space:  global
        .offset:         32
        .size:           8
        .value_kind:     global_buffer
      - .actual_access:  read_only
        .address_space:  global
        .offset:         40
        .size:           8
        .value_kind:     global_buffer
      - .actual_access:  read_only
        .address_space:  global
        .offset:         48
        .size:           8
        .value_kind:     global_buffer
      - .offset:         56
        .size:           8
        .value_kind:     by_value
      - .address_space:  global
        .offset:         64
        .size:           8
        .value_kind:     global_buffer
      - .address_space:  global
        .offset:         72
        .size:           8
        .value_kind:     global_buffer
      - .actual_access:  read_only
        .address_space:  global
        .offset:         80
        .size:           8
        .value_kind:     global_buffer
      - .offset:         88
        .size:           4
        .value_kind:     by_value
      - .address_space:  global
        .offset:         96
        .size:           8
        .value_kind:     global_buffer
      - .offset:         104
        .size:           4
        .value_kind:     by_value
      - .offset:         108
        .size:           4
        .value_kind:     by_value
      - .offset:         112
        .size:           4
        .value_kind:     by_value
      - .offset:         116
        .size:           1
        .value_kind:     by_value
    .group_segment_fixed_size: 8448
    .kernarg_segment_align: 8
    .kernarg_segment_size: 120
    .language:       OpenCL C
    .language_version:
      - 2
      - 0
    .max_flat_workgroup_size: 1024
    .name:           _ZN9rocsparseL12csrsv_kernelILj1024ELj64ELb0Eli21rocsparse_complex_numIdEEEvT3_NS_24const_host_device_scalarIT4_EEPKT2_PKS3_PKS5_SD_lPS5_PiSB_iPS3_21rocsparse_index_base_20rocsparse_fill_mode_20rocsparse_diag_type_b
    .private_segment_fixed_size: 0
    .sgpr_count:     43
    .sgpr_spill_count: 0
    .symbol:         _ZN9rocsparseL12csrsv_kernelILj1024ELj64ELb0Eli21rocsparse_complex_numIdEEEvT3_NS_24const_host_device_scalarIT4_EEPKT2_PKS3_PKS5_SD_lPS5_PiSB_iPS3_21rocsparse_index_base_20rocsparse_fill_mode_20rocsparse_diag_type_b.kd
    .uniform_work_group_size: 1
    .uses_dynamic_stack: false
    .vgpr_count:     26
    .vgpr_spill_count: 0
    .wavefront_size: 64
  - .agpr_count:     0
    .args:
      - .offset:         0
        .size:           8
        .value_kind:     by_value
      - .offset:         8
        .size:           8
        .value_kind:     by_value
      - .actual_access:  read_only
        .address_space:  global
        .offset:         16
        .size:           8
        .value_kind:     global_buffer
      - .actual_access:  read_only
        .address_space:  global
        .offset:         24
        .size:           8
        .value_kind:     global_buffer
      - .actual_access:  read_only
        .address_space:  global
        .offset:         32
        .size:           8
        .value_kind:     global_buffer
      - .actual_access:  read_only
        .address_space:  global
        .offset:         40
        .size:           8
        .value_kind:     global_buffer
      - .offset:         48
        .size:           8
        .value_kind:     by_value
      - .address_space:  global
        .offset:         56
        .size:           8
        .value_kind:     global_buffer
      - .address_space:  global
        .offset:         64
        .size:           8
        .value_kind:     global_buffer
      - .actual_access:  read_only
        .address_space:  global
        .offset:         72
        .size:           8
        .value_kind:     global_buffer
      - .offset:         80
        .size:           4
        .value_kind:     by_value
      - .address_space:  global
        .offset:         88
        .size:           8
        .value_kind:     global_buffer
      - .offset:         96
        .size:           4
        .value_kind:     by_value
      - .offset:         100
        .size:           4
        .value_kind:     by_value
      - .offset:         104
        .size:           4
        .value_kind:     by_value
      - .offset:         108
        .size:           1
        .value_kind:     by_value
    .group_segment_fixed_size: 64
    .kernarg_segment_align: 8
    .kernarg_segment_size: 112
    .language:       OpenCL C
    .language_version:
      - 2
      - 0
    .max_flat_workgroup_size: 1024
    .name:           _ZN9rocsparseL12csrsv_kernelILj1024ELj64ELb1EllfEEvT3_NS_24const_host_device_scalarIT4_EEPKT2_PKS1_PKS3_SB_lPS3_PiS9_iPS1_21rocsparse_index_base_20rocsparse_fill_mode_20rocsparse_diag_type_b
    .private_segment_fixed_size: 0
    .sgpr_count:     44
    .sgpr_spill_count: 0
    .symbol:         _ZN9rocsparseL12csrsv_kernelILj1024ELj64ELb1EllfEEvT3_NS_24const_host_device_scalarIT4_EEPKT2_PKS1_PKS3_SB_lPS3_PiS9_iPS1_21rocsparse_index_base_20rocsparse_fill_mode_20rocsparse_diag_type_b.kd
    .uniform_work_group_size: 1
    .uses_dynamic_stack: false
    .vgpr_count:     16
    .vgpr_spill_count: 0
    .wavefront_size: 64
  - .agpr_count:     0
    .args:
      - .offset:         0
        .size:           8
        .value_kind:     by_value
      - .offset:         8
        .size:           8
        .value_kind:     by_value
      - .actual_access:  read_only
        .address_space:  global
        .offset:         16
        .size:           8
        .value_kind:     global_buffer
      - .actual_access:  read_only
        .address_space:  global
        .offset:         24
        .size:           8
        .value_kind:     global_buffer
      - .actual_access:  read_only
        .address_space:  global
        .offset:         32
        .size:           8
        .value_kind:     global_buffer
      - .actual_access:  read_only
        .address_space:  global
        .offset:         40
        .size:           8
        .value_kind:     global_buffer
      - .offset:         48
        .size:           8
        .value_kind:     by_value
      - .address_space:  global
        .offset:         56
        .size:           8
        .value_kind:     global_buffer
      - .address_space:  global
        .offset:         64
        .size:           8
        .value_kind:     global_buffer
      - .actual_access:  read_only
        .address_space:  global
        .offset:         72
        .size:           8
        .value_kind:     global_buffer
      - .offset:         80
        .size:           4
        .value_kind:     by_value
      - .address_space:  global
        .offset:         88
        .size:           8
        .value_kind:     global_buffer
      - .offset:         96
        .size:           4
        .value_kind:     by_value
      - .offset:         100
        .size:           4
        .value_kind:     by_value
      - .offset:         104
        .size:           4
        .value_kind:     by_value
      - .offset:         108
        .size:           1
        .value_kind:     by_value
    .group_segment_fixed_size: 128
    .kernarg_segment_align: 8
    .kernarg_segment_size: 112
    .language:       OpenCL C
    .language_version:
      - 2
      - 0
    .max_flat_workgroup_size: 1024
    .name:           _ZN9rocsparseL12csrsv_kernelILj1024ELj32ELb0EllfEEvT3_NS_24const_host_device_scalarIT4_EEPKT2_PKS1_PKS3_SB_lPS3_PiS9_iPS1_21rocsparse_index_base_20rocsparse_fill_mode_20rocsparse_diag_type_b
    .private_segment_fixed_size: 0
    .sgpr_count:     44
    .sgpr_spill_count: 0
    .symbol:         _ZN9rocsparseL12csrsv_kernelILj1024ELj32ELb0EllfEEvT3_NS_24const_host_device_scalarIT4_EEPKT2_PKS1_PKS3_SB_lPS3_PiS9_iPS1_21rocsparse_index_base_20rocsparse_fill_mode_20rocsparse_diag_type_b.kd
    .uniform_work_group_size: 1
    .uses_dynamic_stack: false
    .vgpr_count:     16
    .vgpr_spill_count: 0
    .wavefront_size: 64
  - .agpr_count:     0
    .args:
      - .offset:         0
        .size:           8
        .value_kind:     by_value
      - .offset:         8
        .size:           8
        .value_kind:     by_value
      - .actual_access:  read_only
        .address_space:  global
        .offset:         16
        .size:           8
        .value_kind:     global_buffer
      - .actual_access:  read_only
        .address_space:  global
        .offset:         24
        .size:           8
        .value_kind:     global_buffer
      - .actual_access:  read_only
        .address_space:  global
        .offset:         32
        .size:           8
        .value_kind:     global_buffer
      - .actual_access:  read_only
        .address_space:  global
        .offset:         40
        .size:           8
        .value_kind:     global_buffer
      - .offset:         48
        .size:           8
        .value_kind:     by_value
      - .address_space:  global
        .offset:         56
        .size:           8
        .value_kind:     global_buffer
      - .address_space:  global
        .offset:         64
        .size:           8
        .value_kind:     global_buffer
      - .actual_access:  read_only
        .address_space:  global
        .offset:         72
        .size:           8
        .value_kind:     global_buffer
      - .offset:         80
        .size:           4
        .value_kind:     by_value
      - .address_space:  global
        .offset:         88
        .size:           8
        .value_kind:     global_buffer
      - .offset:         96
        .size:           4
        .value_kind:     by_value
      - .offset:         100
        .size:           4
        .value_kind:     by_value
      - .offset:         104
        .size:           4
        .value_kind:     by_value
      - .offset:         108
        .size:           1
        .value_kind:     by_value
    .group_segment_fixed_size: 64
    .kernarg_segment_align: 8
    .kernarg_segment_size: 112
    .language:       OpenCL C
    .language_version:
      - 2
      - 0
    .max_flat_workgroup_size: 1024
    .name:           _ZN9rocsparseL12csrsv_kernelILj1024ELj64ELb0EllfEEvT3_NS_24const_host_device_scalarIT4_EEPKT2_PKS1_PKS3_SB_lPS3_PiS9_iPS1_21rocsparse_index_base_20rocsparse_fill_mode_20rocsparse_diag_type_b
    .private_segment_fixed_size: 0
    .sgpr_count:     44
    .sgpr_spill_count: 0
    .symbol:         _ZN9rocsparseL12csrsv_kernelILj1024ELj64ELb0EllfEEvT3_NS_24const_host_device_scalarIT4_EEPKT2_PKS1_PKS3_SB_lPS3_PiS9_iPS1_21rocsparse_index_base_20rocsparse_fill_mode_20rocsparse_diag_type_b.kd
    .uniform_work_group_size: 1
    .uses_dynamic_stack: false
    .vgpr_count:     16
    .vgpr_spill_count: 0
    .wavefront_size: 64
  - .agpr_count:     0
    .args:
      - .offset:         0
        .size:           8
        .value_kind:     by_value
      - .offset:         8
        .size:           8
        .value_kind:     by_value
      - .actual_access:  read_only
        .address_space:  global
        .offset:         16
        .size:           8
        .value_kind:     global_buffer
      - .actual_access:  read_only
        .address_space:  global
        .offset:         24
        .size:           8
        .value_kind:     global_buffer
      - .actual_access:  read_only
        .address_space:  global
        .offset:         32
        .size:           8
        .value_kind:     global_buffer
      - .actual_access:  read_only
        .address_space:  global
        .offset:         40
        .size:           8
        .value_kind:     global_buffer
      - .offset:         48
        .size:           8
        .value_kind:     by_value
      - .address_space:  global
        .offset:         56
        .size:           8
        .value_kind:     global_buffer
      - .address_space:  global
        .offset:         64
        .size:           8
        .value_kind:     global_buffer
      - .actual_access:  read_only
        .address_space:  global
        .offset:         72
        .size:           8
        .value_kind:     global_buffer
      - .offset:         80
        .size:           4
        .value_kind:     by_value
      - .address_space:  global
        .offset:         88
        .size:           8
        .value_kind:     global_buffer
      - .offset:         96
        .size:           4
        .value_kind:     by_value
      - .offset:         100
        .size:           4
        .value_kind:     by_value
      - .offset:         104
        .size:           4
        .value_kind:     by_value
      - .offset:         108
        .size:           1
        .value_kind:     by_value
    .group_segment_fixed_size: 128
    .kernarg_segment_align: 8
    .kernarg_segment_size: 112
    .language:       OpenCL C
    .language_version:
      - 2
      - 0
    .max_flat_workgroup_size: 1024
    .name:           _ZN9rocsparseL12csrsv_kernelILj1024ELj64ELb1ElldEEvT3_NS_24const_host_device_scalarIT4_EEPKT2_PKS1_PKS3_SB_lPS3_PiS9_iPS1_21rocsparse_index_base_20rocsparse_fill_mode_20rocsparse_diag_type_b
    .private_segment_fixed_size: 0
    .sgpr_count:     46
    .sgpr_spill_count: 0
    .symbol:         _ZN9rocsparseL12csrsv_kernelILj1024ELj64ELb1ElldEEvT3_NS_24const_host_device_scalarIT4_EEPKT2_PKS1_PKS3_SB_lPS3_PiS9_iPS1_21rocsparse_index_base_20rocsparse_fill_mode_20rocsparse_diag_type_b.kd
    .uniform_work_group_size: 1
    .uses_dynamic_stack: false
    .vgpr_count:     22
    .vgpr_spill_count: 0
    .wavefront_size: 64
  - .agpr_count:     0
    .args:
      - .offset:         0
        .size:           8
        .value_kind:     by_value
      - .offset:         8
        .size:           8
        .value_kind:     by_value
      - .actual_access:  read_only
        .address_space:  global
        .offset:         16
        .size:           8
        .value_kind:     global_buffer
      - .actual_access:  read_only
        .address_space:  global
        .offset:         24
        .size:           8
        .value_kind:     global_buffer
      - .actual_access:  read_only
        .address_space:  global
        .offset:         32
        .size:           8
        .value_kind:     global_buffer
      - .actual_access:  read_only
        .address_space:  global
        .offset:         40
        .size:           8
        .value_kind:     global_buffer
      - .offset:         48
        .size:           8
        .value_kind:     by_value
      - .address_space:  global
        .offset:         56
        .size:           8
        .value_kind:     global_buffer
      - .address_space:  global
        .offset:         64
        .size:           8
        .value_kind:     global_buffer
      - .actual_access:  read_only
        .address_space:  global
        .offset:         72
        .size:           8
        .value_kind:     global_buffer
      - .offset:         80
        .size:           4
        .value_kind:     by_value
      - .address_space:  global
        .offset:         88
        .size:           8
        .value_kind:     global_buffer
      - .offset:         96
        .size:           4
        .value_kind:     by_value
      - .offset:         100
        .size:           4
        .value_kind:     by_value
      - .offset:         104
        .size:           4
        .value_kind:     by_value
      - .offset:         108
        .size:           1
        .value_kind:     by_value
    .group_segment_fixed_size: 256
    .kernarg_segment_align: 8
    .kernarg_segment_size: 112
    .language:       OpenCL C
    .language_version:
      - 2
      - 0
    .max_flat_workgroup_size: 1024
    .name:           _ZN9rocsparseL12csrsv_kernelILj1024ELj32ELb0ElldEEvT3_NS_24const_host_device_scalarIT4_EEPKT2_PKS1_PKS3_SB_lPS3_PiS9_iPS1_21rocsparse_index_base_20rocsparse_fill_mode_20rocsparse_diag_type_b
    .private_segment_fixed_size: 0
    .sgpr_count:     46
    .sgpr_spill_count: 0
    .symbol:         _ZN9rocsparseL12csrsv_kernelILj1024ELj32ELb0ElldEEvT3_NS_24const_host_device_scalarIT4_EEPKT2_PKS1_PKS3_SB_lPS3_PiS9_iPS1_21rocsparse_index_base_20rocsparse_fill_mode_20rocsparse_diag_type_b.kd
    .uniform_work_group_size: 1
    .uses_dynamic_stack: false
    .vgpr_count:     22
    .vgpr_spill_count: 0
    .wavefront_size: 64
  - .agpr_count:     0
    .args:
      - .offset:         0
        .size:           8
        .value_kind:     by_value
      - .offset:         8
        .size:           8
        .value_kind:     by_value
      - .actual_access:  read_only
        .address_space:  global
        .offset:         16
        .size:           8
        .value_kind:     global_buffer
      - .actual_access:  read_only
        .address_space:  global
        .offset:         24
        .size:           8
        .value_kind:     global_buffer
      - .actual_access:  read_only
        .address_space:  global
        .offset:         32
        .size:           8
        .value_kind:     global_buffer
      - .actual_access:  read_only
        .address_space:  global
        .offset:         40
        .size:           8
        .value_kind:     global_buffer
      - .offset:         48
        .size:           8
        .value_kind:     by_value
      - .address_space:  global
        .offset:         56
        .size:           8
        .value_kind:     global_buffer
      - .address_space:  global
        .offset:         64
        .size:           8
        .value_kind:     global_buffer
      - .actual_access:  read_only
        .address_space:  global
        .offset:         72
        .size:           8
        .value_kind:     global_buffer
      - .offset:         80
        .size:           4
        .value_kind:     by_value
      - .address_space:  global
        .offset:         88
        .size:           8
        .value_kind:     global_buffer
      - .offset:         96
        .size:           4
        .value_kind:     by_value
      - .offset:         100
        .size:           4
        .value_kind:     by_value
      - .offset:         104
        .size:           4
        .value_kind:     by_value
      - .offset:         108
        .size:           1
        .value_kind:     by_value
    .group_segment_fixed_size: 128
    .kernarg_segment_align: 8
    .kernarg_segment_size: 112
    .language:       OpenCL C
    .language_version:
      - 2
      - 0
    .max_flat_workgroup_size: 1024
    .name:           _ZN9rocsparseL12csrsv_kernelILj1024ELj64ELb0ElldEEvT3_NS_24const_host_device_scalarIT4_EEPKT2_PKS1_PKS3_SB_lPS3_PiS9_iPS1_21rocsparse_index_base_20rocsparse_fill_mode_20rocsparse_diag_type_b
    .private_segment_fixed_size: 0
    .sgpr_count:     46
    .sgpr_spill_count: 0
    .symbol:         _ZN9rocsparseL12csrsv_kernelILj1024ELj64ELb0ElldEEvT3_NS_24const_host_device_scalarIT4_EEPKT2_PKS1_PKS3_SB_lPS3_PiS9_iPS1_21rocsparse_index_base_20rocsparse_fill_mode_20rocsparse_diag_type_b.kd
    .uniform_work_group_size: 1
    .uses_dynamic_stack: false
    .vgpr_count:     22
    .vgpr_spill_count: 0
    .wavefront_size: 64
  - .agpr_count:     0
    .args:
      - .offset:         0
        .size:           8
        .value_kind:     by_value
      - .offset:         8
        .size:           8
        .value_kind:     by_value
      - .actual_access:  read_only
        .address_space:  global
        .offset:         16
        .size:           8
        .value_kind:     global_buffer
      - .actual_access:  read_only
        .address_space:  global
        .offset:         24
        .size:           8
        .value_kind:     global_buffer
      - .actual_access:  read_only
        .address_space:  global
        .offset:         32
        .size:           8
        .value_kind:     global_buffer
      - .actual_access:  read_only
        .address_space:  global
        .offset:         40
        .size:           8
        .value_kind:     global_buffer
      - .offset:         48
        .size:           8
        .value_kind:     by_value
      - .address_space:  global
        .offset:         56
        .size:           8
        .value_kind:     global_buffer
      - .address_space:  global
        .offset:         64
        .size:           8
        .value_kind:     global_buffer
      - .actual_access:  read_only
        .address_space:  global
        .offset:         72
        .size:           8
        .value_kind:     global_buffer
      - .offset:         80
        .size:           4
        .value_kind:     by_value
      - .address_space:  global
        .offset:         88
        .size:           8
        .value_kind:     global_buffer
      - .offset:         96
        .size:           4
        .value_kind:     by_value
      - .offset:         100
        .size:           4
        .value_kind:     by_value
      - .offset:         104
        .size:           4
        .value_kind:     by_value
      - .offset:         108
        .size:           1
        .value_kind:     by_value
    .group_segment_fixed_size: 128
    .kernarg_segment_align: 8
    .kernarg_segment_size: 112
    .language:       OpenCL C
    .language_version:
      - 2
      - 0
    .max_flat_workgroup_size: 1024
    .name:           _ZN9rocsparseL12csrsv_kernelILj1024ELj64ELb1Ell21rocsparse_complex_numIfEEEvT3_NS_24const_host_device_scalarIT4_EEPKT2_PKS3_PKS5_SD_lPS5_PiSB_iPS3_21rocsparse_index_base_20rocsparse_fill_mode_20rocsparse_diag_type_b
    .private_segment_fixed_size: 0
    .sgpr_count:     46
    .sgpr_spill_count: 0
    .symbol:         _ZN9rocsparseL12csrsv_kernelILj1024ELj64ELb1Ell21rocsparse_complex_numIfEEEvT3_NS_24const_host_device_scalarIT4_EEPKT2_PKS3_PKS5_SD_lPS5_PiSB_iPS3_21rocsparse_index_base_20rocsparse_fill_mode_20rocsparse_diag_type_b.kd
    .uniform_work_group_size: 1
    .uses_dynamic_stack: false
    .vgpr_count:     19
    .vgpr_spill_count: 0
    .wavefront_size: 64
  - .agpr_count:     0
    .args:
      - .offset:         0
        .size:           8
        .value_kind:     by_value
      - .offset:         8
        .size:           8
        .value_kind:     by_value
      - .actual_access:  read_only
        .address_space:  global
        .offset:         16
        .size:           8
        .value_kind:     global_buffer
      - .actual_access:  read_only
        .address_space:  global
        .offset:         24
        .size:           8
        .value_kind:     global_buffer
      - .actual_access:  read_only
        .address_space:  global
        .offset:         32
        .size:           8
        .value_kind:     global_buffer
      - .actual_access:  read_only
        .address_space:  global
        .offset:         40
        .size:           8
        .value_kind:     global_buffer
      - .offset:         48
        .size:           8
        .value_kind:     by_value
      - .address_space:  global
        .offset:         56
        .size:           8
        .value_kind:     global_buffer
      - .address_space:  global
        .offset:         64
        .size:           8
        .value_kind:     global_buffer
      - .actual_access:  read_only
        .address_space:  global
        .offset:         72
        .size:           8
        .value_kind:     global_buffer
      - .offset:         80
        .size:           4
        .value_kind:     by_value
      - .address_space:  global
        .offset:         88
        .size:           8
        .value_kind:     global_buffer
      - .offset:         96
        .size:           4
        .value_kind:     by_value
      - .offset:         100
        .size:           4
        .value_kind:     by_value
      - .offset:         104
        .size:           4
        .value_kind:     by_value
      - .offset:         108
        .size:           1
        .value_kind:     by_value
    .group_segment_fixed_size: 256
    .kernarg_segment_align: 8
    .kernarg_segment_size: 112
    .language:       OpenCL C
    .language_version:
      - 2
      - 0
    .max_flat_workgroup_size: 1024
    .name:           _ZN9rocsparseL12csrsv_kernelILj1024ELj32ELb0Ell21rocsparse_complex_numIfEEEvT3_NS_24const_host_device_scalarIT4_EEPKT2_PKS3_PKS5_SD_lPS5_PiSB_iPS3_21rocsparse_index_base_20rocsparse_fill_mode_20rocsparse_diag_type_b
    .private_segment_fixed_size: 0
    .sgpr_count:     46
    .sgpr_spill_count: 0
    .symbol:         _ZN9rocsparseL12csrsv_kernelILj1024ELj32ELb0Ell21rocsparse_complex_numIfEEEvT3_NS_24const_host_device_scalarIT4_EEPKT2_PKS3_PKS5_SD_lPS5_PiSB_iPS3_21rocsparse_index_base_20rocsparse_fill_mode_20rocsparse_diag_type_b.kd
    .uniform_work_group_size: 1
    .uses_dynamic_stack: false
    .vgpr_count:     19
    .vgpr_spill_count: 0
    .wavefront_size: 64
  - .agpr_count:     0
    .args:
      - .offset:         0
        .size:           8
        .value_kind:     by_value
      - .offset:         8
        .size:           8
        .value_kind:     by_value
      - .actual_access:  read_only
        .address_space:  global
        .offset:         16
        .size:           8
        .value_kind:     global_buffer
      - .actual_access:  read_only
        .address_space:  global
        .offset:         24
        .size:           8
        .value_kind:     global_buffer
      - .actual_access:  read_only
        .address_space:  global
        .offset:         32
        .size:           8
        .value_kind:     global_buffer
      - .actual_access:  read_only
        .address_space:  global
        .offset:         40
        .size:           8
        .value_kind:     global_buffer
      - .offset:         48
        .size:           8
        .value_kind:     by_value
      - .address_space:  global
        .offset:         56
        .size:           8
        .value_kind:     global_buffer
      - .address_space:  global
        .offset:         64
        .size:           8
        .value_kind:     global_buffer
      - .actual_access:  read_only
        .address_space:  global
        .offset:         72
        .size:           8
        .value_kind:     global_buffer
      - .offset:         80
        .size:           4
        .value_kind:     by_value
      - .address_space:  global
        .offset:         88
        .size:           8
        .value_kind:     global_buffer
      - .offset:         96
        .size:           4
        .value_kind:     by_value
      - .offset:         100
        .size:           4
        .value_kind:     by_value
      - .offset:         104
        .size:           4
        .value_kind:     by_value
      - .offset:         108
        .size:           1
        .value_kind:     by_value
    .group_segment_fixed_size: 128
    .kernarg_segment_align: 8
    .kernarg_segment_size: 112
    .language:       OpenCL C
    .language_version:
      - 2
      - 0
    .max_flat_workgroup_size: 1024
    .name:           _ZN9rocsparseL12csrsv_kernelILj1024ELj64ELb0Ell21rocsparse_complex_numIfEEEvT3_NS_24const_host_device_scalarIT4_EEPKT2_PKS3_PKS5_SD_lPS5_PiSB_iPS3_21rocsparse_index_base_20rocsparse_fill_mode_20rocsparse_diag_type_b
    .private_segment_fixed_size: 0
    .sgpr_count:     46
    .sgpr_spill_count: 0
    .symbol:         _ZN9rocsparseL12csrsv_kernelILj1024ELj64ELb0Ell21rocsparse_complex_numIfEEEvT3_NS_24const_host_device_scalarIT4_EEPKT2_PKS3_PKS5_SD_lPS5_PiSB_iPS3_21rocsparse_index_base_20rocsparse_fill_mode_20rocsparse_diag_type_b.kd
    .uniform_work_group_size: 1
    .uses_dynamic_stack: false
    .vgpr_count:     19
    .vgpr_spill_count: 0
    .wavefront_size: 64
  - .agpr_count:     0
    .args:
      - .offset:         0
        .size:           8
        .value_kind:     by_value
      - .offset:         8
        .size:           16
        .value_kind:     by_value
      - .actual_access:  read_only
        .address_space:  global
        .offset:         24
        .size:           8
        .value_kind:     global_buffer
      - .actual_access:  read_only
        .address_space:  global
        .offset:         32
        .size:           8
        .value_kind:     global_buffer
      - .actual_access:  read_only
        .address_space:  global
        .offset:         40
        .size:           8
        .value_kind:     global_buffer
      - .actual_access:  read_only
        .address_space:  global
        .offset:         48
        .size:           8
        .value_kind:     global_buffer
      - .offset:         56
        .size:           8
        .value_kind:     by_value
      - .address_space:  global
        .offset:         64
        .size:           8
        .value_kind:     global_buffer
      - .address_space:  global
        .offset:         72
        .size:           8
        .value_kind:     global_buffer
      - .actual_access:  read_only
        .address_space:  global
        .offset:         80
        .size:           8
        .value_kind:     global_buffer
      - .offset:         88
        .size:           4
        .value_kind:     by_value
      - .address_space:  global
        .offset:         96
        .size:           8
        .value_kind:     global_buffer
      - .offset:         104
        .size:           4
        .value_kind:     by_value
      - .offset:         108
        .size:           4
        .value_kind:     by_value
      - .offset:         112
        .size:           4
        .value_kind:     by_value
      - .offset:         116
        .size:           1
        .value_kind:     by_value
    .group_segment_fixed_size: 8448
    .kernarg_segment_align: 8
    .kernarg_segment_size: 120
    .language:       OpenCL C
    .language_version:
      - 2
      - 0
    .max_flat_workgroup_size: 1024
    .name:           _ZN9rocsparseL12csrsv_kernelILj1024ELj64ELb1Ell21rocsparse_complex_numIdEEEvT3_NS_24const_host_device_scalarIT4_EEPKT2_PKS3_PKS5_SD_lPS5_PiSB_iPS3_21rocsparse_index_base_20rocsparse_fill_mode_20rocsparse_diag_type_b
    .private_segment_fixed_size: 0
    .sgpr_count:     44
    .sgpr_spill_count: 0
    .symbol:         _ZN9rocsparseL12csrsv_kernelILj1024ELj64ELb1Ell21rocsparse_complex_numIdEEEvT3_NS_24const_host_device_scalarIT4_EEPKT2_PKS3_PKS5_SD_lPS5_PiSB_iPS3_21rocsparse_index_base_20rocsparse_fill_mode_20rocsparse_diag_type_b.kd
    .uniform_work_group_size: 1
    .uses_dynamic_stack: false
    .vgpr_count:     28
    .vgpr_spill_count: 0
    .wavefront_size: 64
  - .agpr_count:     0
    .args:
      - .offset:         0
        .size:           8
        .value_kind:     by_value
      - .offset:         8
        .size:           16
        .value_kind:     by_value
      - .actual_access:  read_only
        .address_space:  global
        .offset:         24
        .size:           8
        .value_kind:     global_buffer
      - .actual_access:  read_only
        .address_space:  global
        .offset:         32
        .size:           8
        .value_kind:     global_buffer
      - .actual_access:  read_only
        .address_space:  global
        .offset:         40
        .size:           8
        .value_kind:     global_buffer
      - .actual_access:  read_only
        .address_space:  global
        .offset:         48
        .size:           8
        .value_kind:     global_buffer
      - .offset:         56
        .size:           8
        .value_kind:     by_value
      - .address_space:  global
        .offset:         64
        .size:           8
        .value_kind:     global_buffer
      - .address_space:  global
        .offset:         72
        .size:           8
        .value_kind:     global_buffer
      - .actual_access:  read_only
        .address_space:  global
        .offset:         80
        .size:           8
        .value_kind:     global_buffer
      - .offset:         88
        .size:           4
        .value_kind:     by_value
      - .address_space:  global
        .offset:         96
        .size:           8
        .value_kind:     global_buffer
      - .offset:         104
        .size:           4
        .value_kind:     by_value
      - .offset:         108
        .size:           4
        .value_kind:     by_value
      - .offset:         112
        .size:           4
        .value_kind:     by_value
      - .offset:         116
        .size:           1
        .value_kind:     by_value
    .group_segment_fixed_size: 8704
    .kernarg_segment_align: 8
    .kernarg_segment_size: 120
    .language:       OpenCL C
    .language_version:
      - 2
      - 0
    .max_flat_workgroup_size: 1024
    .name:           _ZN9rocsparseL12csrsv_kernelILj1024ELj32ELb0Ell21rocsparse_complex_numIdEEEvT3_NS_24const_host_device_scalarIT4_EEPKT2_PKS3_PKS5_SD_lPS5_PiSB_iPS3_21rocsparse_index_base_20rocsparse_fill_mode_20rocsparse_diag_type_b
    .private_segment_fixed_size: 0
    .sgpr_count:     44
    .sgpr_spill_count: 0
    .symbol:         _ZN9rocsparseL12csrsv_kernelILj1024ELj32ELb0Ell21rocsparse_complex_numIdEEEvT3_NS_24const_host_device_scalarIT4_EEPKT2_PKS3_PKS5_SD_lPS5_PiSB_iPS3_21rocsparse_index_base_20rocsparse_fill_mode_20rocsparse_diag_type_b.kd
    .uniform_work_group_size: 1
    .uses_dynamic_stack: false
    .vgpr_count:     28
    .vgpr_spill_count: 0
    .wavefront_size: 64
  - .agpr_count:     0
    .args:
      - .offset:         0
        .size:           8
        .value_kind:     by_value
      - .offset:         8
        .size:           16
        .value_kind:     by_value
      - .actual_access:  read_only
        .address_space:  global
        .offset:         24
        .size:           8
        .value_kind:     global_buffer
      - .actual_access:  read_only
        .address_space:  global
        .offset:         32
        .size:           8
        .value_kind:     global_buffer
      - .actual_access:  read_only
        .address_space:  global
        .offset:         40
        .size:           8
        .value_kind:     global_buffer
      - .actual_access:  read_only
        .address_space:  global
        .offset:         48
        .size:           8
        .value_kind:     global_buffer
      - .offset:         56
        .size:           8
        .value_kind:     by_value
      - .address_space:  global
        .offset:         64
        .size:           8
        .value_kind:     global_buffer
      - .address_space:  global
        .offset:         72
        .size:           8
        .value_kind:     global_buffer
      - .actual_access:  read_only
        .address_space:  global
        .offset:         80
        .size:           8
        .value_kind:     global_buffer
      - .offset:         88
        .size:           4
        .value_kind:     by_value
      - .address_space:  global
        .offset:         96
        .size:           8
        .value_kind:     global_buffer
      - .offset:         104
        .size:           4
        .value_kind:     by_value
      - .offset:         108
        .size:           4
        .value_kind:     by_value
      - .offset:         112
        .size:           4
        .value_kind:     by_value
      - .offset:         116
        .size:           1
        .value_kind:     by_value
    .group_segment_fixed_size: 8448
    .kernarg_segment_align: 8
    .kernarg_segment_size: 120
    .language:       OpenCL C
    .language_version:
      - 2
      - 0
    .max_flat_workgroup_size: 1024
    .name:           _ZN9rocsparseL12csrsv_kernelILj1024ELj64ELb0Ell21rocsparse_complex_numIdEEEvT3_NS_24const_host_device_scalarIT4_EEPKT2_PKS3_PKS5_SD_lPS5_PiSB_iPS3_21rocsparse_index_base_20rocsparse_fill_mode_20rocsparse_diag_type_b
    .private_segment_fixed_size: 0
    .sgpr_count:     44
    .sgpr_spill_count: 0
    .symbol:         _ZN9rocsparseL12csrsv_kernelILj1024ELj64ELb0Ell21rocsparse_complex_numIdEEEvT3_NS_24const_host_device_scalarIT4_EEPKT2_PKS3_PKS5_SD_lPS5_PiSB_iPS3_21rocsparse_index_base_20rocsparse_fill_mode_20rocsparse_diag_type_b.kd
    .uniform_work_group_size: 1
    .uses_dynamic_stack: false
    .vgpr_count:     28
    .vgpr_spill_count: 0
    .wavefront_size: 64
  - .agpr_count:     0
    .args:
      - .offset:         0
        .size:           8
        .value_kind:     by_value
      - .offset:         8
        .size:           8
        .value_kind:     by_value
      - .actual_access:  read_only
        .address_space:  global
        .offset:         16
        .size:           8
        .value_kind:     global_buffer
      - .actual_access:  read_only
        .address_space:  global
        .offset:         24
        .size:           8
        .value_kind:     global_buffer
      - .actual_access:  read_only
        .address_space:  global
        .offset:         32
        .size:           8
        .value_kind:     global_buffer
      - .actual_access:  read_only
        .address_space:  global
        .offset:         40
        .size:           8
        .value_kind:     global_buffer
      - .offset:         48
        .size:           8
        .value_kind:     by_value
      - .address_space:  global
        .offset:         56
        .size:           8
        .value_kind:     global_buffer
      - .address_space:  global
        .offset:         64
        .size:           8
        .value_kind:     global_buffer
      - .actual_access:  read_only
        .address_space:  global
        .offset:         72
        .size:           8
        .value_kind:     global_buffer
      - .offset:         80
        .size:           4
        .value_kind:     by_value
      - .address_space:  global
        .offset:         88
        .size:           8
        .value_kind:     global_buffer
      - .offset:         96
        .size:           4
        .value_kind:     by_value
      - .offset:         100
        .size:           4
        .value_kind:     by_value
      - .offset:         104
        .size:           4
        .value_kind:     by_value
      - .offset:         108
        .size:           1
        .value_kind:     by_value
    .group_segment_fixed_size: 64
    .kernarg_segment_align: 8
    .kernarg_segment_size: 112
    .language:       OpenCL C
    .language_version:
      - 2
      - 0
    .max_flat_workgroup_size: 1024
    .name:           _ZN9rocsparseL12csrsv_kernelILj1024ELj64ELb1EilfEEvT3_NS_24const_host_device_scalarIT4_EEPKT2_PKS1_PKS3_SB_lPS3_PiS9_iPS1_21rocsparse_index_base_20rocsparse_fill_mode_20rocsparse_diag_type_b
    .private_segment_fixed_size: 0
    .sgpr_count:     45
    .sgpr_spill_count: 0
    .symbol:         _ZN9rocsparseL12csrsv_kernelILj1024ELj64ELb1EilfEEvT3_NS_24const_host_device_scalarIT4_EEPKT2_PKS1_PKS3_SB_lPS3_PiS9_iPS1_21rocsparse_index_base_20rocsparse_fill_mode_20rocsparse_diag_type_b.kd
    .uniform_work_group_size: 1
    .uses_dynamic_stack: false
    .vgpr_count:     15
    .vgpr_spill_count: 0
    .wavefront_size: 64
  - .agpr_count:     0
    .args:
      - .offset:         0
        .size:           8
        .value_kind:     by_value
      - .offset:         8
        .size:           8
        .value_kind:     by_value
      - .actual_access:  read_only
        .address_space:  global
        .offset:         16
        .size:           8
        .value_kind:     global_buffer
      - .actual_access:  read_only
        .address_space:  global
        .offset:         24
        .size:           8
        .value_kind:     global_buffer
      - .actual_access:  read_only
        .address_space:  global
        .offset:         32
        .size:           8
        .value_kind:     global_buffer
      - .actual_access:  read_only
        .address_space:  global
        .offset:         40
        .size:           8
        .value_kind:     global_buffer
      - .offset:         48
        .size:           8
        .value_kind:     by_value
      - .address_space:  global
        .offset:         56
        .size:           8
        .value_kind:     global_buffer
      - .address_space:  global
        .offset:         64
        .size:           8
        .value_kind:     global_buffer
      - .actual_access:  read_only
        .address_space:  global
        .offset:         72
        .size:           8
        .value_kind:     global_buffer
      - .offset:         80
        .size:           4
        .value_kind:     by_value
      - .address_space:  global
        .offset:         88
        .size:           8
        .value_kind:     global_buffer
      - .offset:         96
        .size:           4
        .value_kind:     by_value
      - .offset:         100
        .size:           4
        .value_kind:     by_value
      - .offset:         104
        .size:           4
        .value_kind:     by_value
      - .offset:         108
        .size:           1
        .value_kind:     by_value
    .group_segment_fixed_size: 128
    .kernarg_segment_align: 8
    .kernarg_segment_size: 112
    .language:       OpenCL C
    .language_version:
      - 2
      - 0
    .max_flat_workgroup_size: 1024
    .name:           _ZN9rocsparseL12csrsv_kernelILj1024ELj32ELb0EilfEEvT3_NS_24const_host_device_scalarIT4_EEPKT2_PKS1_PKS3_SB_lPS3_PiS9_iPS1_21rocsparse_index_base_20rocsparse_fill_mode_20rocsparse_diag_type_b
    .private_segment_fixed_size: 0
    .sgpr_count:     45
    .sgpr_spill_count: 0
    .symbol:         _ZN9rocsparseL12csrsv_kernelILj1024ELj32ELb0EilfEEvT3_NS_24const_host_device_scalarIT4_EEPKT2_PKS1_PKS3_SB_lPS3_PiS9_iPS1_21rocsparse_index_base_20rocsparse_fill_mode_20rocsparse_diag_type_b.kd
    .uniform_work_group_size: 1
    .uses_dynamic_stack: false
    .vgpr_count:     15
    .vgpr_spill_count: 0
    .wavefront_size: 64
  - .agpr_count:     0
    .args:
      - .offset:         0
        .size:           8
        .value_kind:     by_value
      - .offset:         8
        .size:           8
        .value_kind:     by_value
      - .actual_access:  read_only
        .address_space:  global
        .offset:         16
        .size:           8
        .value_kind:     global_buffer
      - .actual_access:  read_only
        .address_space:  global
        .offset:         24
        .size:           8
        .value_kind:     global_buffer
      - .actual_access:  read_only
        .address_space:  global
        .offset:         32
        .size:           8
        .value_kind:     global_buffer
      - .actual_access:  read_only
        .address_space:  global
        .offset:         40
        .size:           8
        .value_kind:     global_buffer
      - .offset:         48
        .size:           8
        .value_kind:     by_value
      - .address_space:  global
        .offset:         56
        .size:           8
        .value_kind:     global_buffer
      - .address_space:  global
        .offset:         64
        .size:           8
        .value_kind:     global_buffer
      - .actual_access:  read_only
        .address_space:  global
        .offset:         72
        .size:           8
        .value_kind:     global_buffer
      - .offset:         80
        .size:           4
        .value_kind:     by_value
      - .address_space:  global
        .offset:         88
        .size:           8
        .value_kind:     global_buffer
      - .offset:         96
        .size:           4
        .value_kind:     by_value
      - .offset:         100
        .size:           4
        .value_kind:     by_value
      - .offset:         104
        .size:           4
        .value_kind:     by_value
      - .offset:         108
        .size:           1
        .value_kind:     by_value
    .group_segment_fixed_size: 64
    .kernarg_segment_align: 8
    .kernarg_segment_size: 112
    .language:       OpenCL C
    .language_version:
      - 2
      - 0
    .max_flat_workgroup_size: 1024
    .name:           _ZN9rocsparseL12csrsv_kernelILj1024ELj64ELb0EilfEEvT3_NS_24const_host_device_scalarIT4_EEPKT2_PKS1_PKS3_SB_lPS3_PiS9_iPS1_21rocsparse_index_base_20rocsparse_fill_mode_20rocsparse_diag_type_b
    .private_segment_fixed_size: 0
    .sgpr_count:     45
    .sgpr_spill_count: 0
    .symbol:         _ZN9rocsparseL12csrsv_kernelILj1024ELj64ELb0EilfEEvT3_NS_24const_host_device_scalarIT4_EEPKT2_PKS1_PKS3_SB_lPS3_PiS9_iPS1_21rocsparse_index_base_20rocsparse_fill_mode_20rocsparse_diag_type_b.kd
    .uniform_work_group_size: 1
    .uses_dynamic_stack: false
    .vgpr_count:     15
    .vgpr_spill_count: 0
    .wavefront_size: 64
  - .agpr_count:     0
    .args:
      - .offset:         0
        .size:           8
        .value_kind:     by_value
      - .offset:         8
        .size:           8
        .value_kind:     by_value
      - .actual_access:  read_only
        .address_space:  global
        .offset:         16
        .size:           8
        .value_kind:     global_buffer
      - .actual_access:  read_only
        .address_space:  global
        .offset:         24
        .size:           8
        .value_kind:     global_buffer
      - .actual_access:  read_only
        .address_space:  global
        .offset:         32
        .size:           8
        .value_kind:     global_buffer
      - .actual_access:  read_only
        .address_space:  global
        .offset:         40
        .size:           8
        .value_kind:     global_buffer
      - .offset:         48
        .size:           8
        .value_kind:     by_value
      - .address_space:  global
        .offset:         56
        .size:           8
        .value_kind:     global_buffer
      - .address_space:  global
        .offset:         64
        .size:           8
        .value_kind:     global_buffer
      - .actual_access:  read_only
        .address_space:  global
        .offset:         72
        .size:           8
        .value_kind:     global_buffer
      - .offset:         80
        .size:           4
        .value_kind:     by_value
      - .address_space:  global
        .offset:         88
        .size:           8
        .value_kind:     global_buffer
      - .offset:         96
        .size:           4
        .value_kind:     by_value
      - .offset:         100
        .size:           4
        .value_kind:     by_value
      - .offset:         104
        .size:           4
        .value_kind:     by_value
      - .offset:         108
        .size:           1
        .value_kind:     by_value
    .group_segment_fixed_size: 128
    .kernarg_segment_align: 8
    .kernarg_segment_size: 112
    .language:       OpenCL C
    .language_version:
      - 2
      - 0
    .max_flat_workgroup_size: 1024
    .name:           _ZN9rocsparseL12csrsv_kernelILj1024ELj64ELb1EildEEvT3_NS_24const_host_device_scalarIT4_EEPKT2_PKS1_PKS3_SB_lPS3_PiS9_iPS1_21rocsparse_index_base_20rocsparse_fill_mode_20rocsparse_diag_type_b
    .private_segment_fixed_size: 0
    .sgpr_count:     45
    .sgpr_spill_count: 0
    .symbol:         _ZN9rocsparseL12csrsv_kernelILj1024ELj64ELb1EildEEvT3_NS_24const_host_device_scalarIT4_EEPKT2_PKS1_PKS3_SB_lPS3_PiS9_iPS1_21rocsparse_index_base_20rocsparse_fill_mode_20rocsparse_diag_type_b.kd
    .uniform_work_group_size: 1
    .uses_dynamic_stack: false
    .vgpr_count:     22
    .vgpr_spill_count: 0
    .wavefront_size: 64
  - .agpr_count:     0
    .args:
      - .offset:         0
        .size:           8
        .value_kind:     by_value
      - .offset:         8
        .size:           8
        .value_kind:     by_value
      - .actual_access:  read_only
        .address_space:  global
        .offset:         16
        .size:           8
        .value_kind:     global_buffer
      - .actual_access:  read_only
        .address_space:  global
        .offset:         24
        .size:           8
        .value_kind:     global_buffer
      - .actual_access:  read_only
        .address_space:  global
        .offset:         32
        .size:           8
        .value_kind:     global_buffer
      - .actual_access:  read_only
        .address_space:  global
        .offset:         40
        .size:           8
        .value_kind:     global_buffer
      - .offset:         48
        .size:           8
        .value_kind:     by_value
      - .address_space:  global
        .offset:         56
        .size:           8
        .value_kind:     global_buffer
      - .address_space:  global
        .offset:         64
        .size:           8
        .value_kind:     global_buffer
      - .actual_access:  read_only
        .address_space:  global
        .offset:         72
        .size:           8
        .value_kind:     global_buffer
      - .offset:         80
        .size:           4
        .value_kind:     by_value
      - .address_space:  global
        .offset:         88
        .size:           8
        .value_kind:     global_buffer
      - .offset:         96
        .size:           4
        .value_kind:     by_value
      - .offset:         100
        .size:           4
        .value_kind:     by_value
      - .offset:         104
        .size:           4
        .value_kind:     by_value
      - .offset:         108
        .size:           1
        .value_kind:     by_value
    .group_segment_fixed_size: 256
    .kernarg_segment_align: 8
    .kernarg_segment_size: 112
    .language:       OpenCL C
    .language_version:
      - 2
      - 0
    .max_flat_workgroup_size: 1024
    .name:           _ZN9rocsparseL12csrsv_kernelILj1024ELj32ELb0EildEEvT3_NS_24const_host_device_scalarIT4_EEPKT2_PKS1_PKS3_SB_lPS3_PiS9_iPS1_21rocsparse_index_base_20rocsparse_fill_mode_20rocsparse_diag_type_b
    .private_segment_fixed_size: 0
    .sgpr_count:     45
    .sgpr_spill_count: 0
    .symbol:         _ZN9rocsparseL12csrsv_kernelILj1024ELj32ELb0EildEEvT3_NS_24const_host_device_scalarIT4_EEPKT2_PKS1_PKS3_SB_lPS3_PiS9_iPS1_21rocsparse_index_base_20rocsparse_fill_mode_20rocsparse_diag_type_b.kd
    .uniform_work_group_size: 1
    .uses_dynamic_stack: false
    .vgpr_count:     22
    .vgpr_spill_count: 0
    .wavefront_size: 64
  - .agpr_count:     0
    .args:
      - .offset:         0
        .size:           8
        .value_kind:     by_value
      - .offset:         8
        .size:           8
        .value_kind:     by_value
      - .actual_access:  read_only
        .address_space:  global
        .offset:         16
        .size:           8
        .value_kind:     global_buffer
      - .actual_access:  read_only
        .address_space:  global
        .offset:         24
        .size:           8
        .value_kind:     global_buffer
      - .actual_access:  read_only
        .address_space:  global
        .offset:         32
        .size:           8
        .value_kind:     global_buffer
      - .actual_access:  read_only
        .address_space:  global
        .offset:         40
        .size:           8
        .value_kind:     global_buffer
      - .offset:         48
        .size:           8
        .value_kind:     by_value
      - .address_space:  global
        .offset:         56
        .size:           8
        .value_kind:     global_buffer
      - .address_space:  global
        .offset:         64
        .size:           8
        .value_kind:     global_buffer
      - .actual_access:  read_only
        .address_space:  global
        .offset:         72
        .size:           8
        .value_kind:     global_buffer
      - .offset:         80
        .size:           4
        .value_kind:     by_value
      - .address_space:  global
        .offset:         88
        .size:           8
        .value_kind:     global_buffer
      - .offset:         96
        .size:           4
        .value_kind:     by_value
      - .offset:         100
        .size:           4
        .value_kind:     by_value
      - .offset:         104
        .size:           4
        .value_kind:     by_value
      - .offset:         108
        .size:           1
        .value_kind:     by_value
    .group_segment_fixed_size: 128
    .kernarg_segment_align: 8
    .kernarg_segment_size: 112
    .language:       OpenCL C
    .language_version:
      - 2
      - 0
    .max_flat_workgroup_size: 1024
    .name:           _ZN9rocsparseL12csrsv_kernelILj1024ELj64ELb0EildEEvT3_NS_24const_host_device_scalarIT4_EEPKT2_PKS1_PKS3_SB_lPS3_PiS9_iPS1_21rocsparse_index_base_20rocsparse_fill_mode_20rocsparse_diag_type_b
    .private_segment_fixed_size: 0
    .sgpr_count:     45
    .sgpr_spill_count: 0
    .symbol:         _ZN9rocsparseL12csrsv_kernelILj1024ELj64ELb0EildEEvT3_NS_24const_host_device_scalarIT4_EEPKT2_PKS1_PKS3_SB_lPS3_PiS9_iPS1_21rocsparse_index_base_20rocsparse_fill_mode_20rocsparse_diag_type_b.kd
    .uniform_work_group_size: 1
    .uses_dynamic_stack: false
    .vgpr_count:     22
    .vgpr_spill_count: 0
    .wavefront_size: 64
  - .agpr_count:     0
    .args:
      - .offset:         0
        .size:           8
        .value_kind:     by_value
      - .offset:         8
        .size:           8
        .value_kind:     by_value
      - .actual_access:  read_only
        .address_space:  global
        .offset:         16
        .size:           8
        .value_kind:     global_buffer
      - .actual_access:  read_only
        .address_space:  global
        .offset:         24
        .size:           8
        .value_kind:     global_buffer
      - .actual_access:  read_only
        .address_space:  global
        .offset:         32
        .size:           8
        .value_kind:     global_buffer
      - .actual_access:  read_only
        .address_space:  global
        .offset:         40
        .size:           8
        .value_kind:     global_buffer
      - .offset:         48
        .size:           8
        .value_kind:     by_value
      - .address_space:  global
        .offset:         56
        .size:           8
        .value_kind:     global_buffer
      - .address_space:  global
        .offset:         64
        .size:           8
        .value_kind:     global_buffer
      - .actual_access:  read_only
        .address_space:  global
        .offset:         72
        .size:           8
        .value_kind:     global_buffer
      - .offset:         80
        .size:           4
        .value_kind:     by_value
      - .address_space:  global
        .offset:         88
        .size:           8
        .value_kind:     global_buffer
      - .offset:         96
        .size:           4
        .value_kind:     by_value
      - .offset:         100
        .size:           4
        .value_kind:     by_value
      - .offset:         104
        .size:           4
        .value_kind:     by_value
      - .offset:         108
        .size:           1
        .value_kind:     by_value
    .group_segment_fixed_size: 128
    .kernarg_segment_align: 8
    .kernarg_segment_size: 112
    .language:       OpenCL C
    .language_version:
      - 2
      - 0
    .max_flat_workgroup_size: 1024
    .name:           _ZN9rocsparseL12csrsv_kernelILj1024ELj64ELb1Eil21rocsparse_complex_numIfEEEvT3_NS_24const_host_device_scalarIT4_EEPKT2_PKS3_PKS5_SD_lPS5_PiSB_iPS3_21rocsparse_index_base_20rocsparse_fill_mode_20rocsparse_diag_type_b
    .private_segment_fixed_size: 0
    .sgpr_count:     45
    .sgpr_spill_count: 0
    .symbol:         _ZN9rocsparseL12csrsv_kernelILj1024ELj64ELb1Eil21rocsparse_complex_numIfEEEvT3_NS_24const_host_device_scalarIT4_EEPKT2_PKS3_PKS5_SD_lPS5_PiSB_iPS3_21rocsparse_index_base_20rocsparse_fill_mode_20rocsparse_diag_type_b.kd
    .uniform_work_group_size: 1
    .uses_dynamic_stack: false
    .vgpr_count:     18
    .vgpr_spill_count: 0
    .wavefront_size: 64
  - .agpr_count:     0
    .args:
      - .offset:         0
        .size:           8
        .value_kind:     by_value
      - .offset:         8
        .size:           8
        .value_kind:     by_value
      - .actual_access:  read_only
        .address_space:  global
        .offset:         16
        .size:           8
        .value_kind:     global_buffer
      - .actual_access:  read_only
        .address_space:  global
        .offset:         24
        .size:           8
        .value_kind:     global_buffer
      - .actual_access:  read_only
        .address_space:  global
        .offset:         32
        .size:           8
        .value_kind:     global_buffer
      - .actual_access:  read_only
        .address_space:  global
        .offset:         40
        .size:           8
        .value_kind:     global_buffer
      - .offset:         48
        .size:           8
        .value_kind:     by_value
      - .address_space:  global
        .offset:         56
        .size:           8
        .value_kind:     global_buffer
      - .address_space:  global
        .offset:         64
        .size:           8
        .value_kind:     global_buffer
      - .actual_access:  read_only
        .address_space:  global
        .offset:         72
        .size:           8
        .value_kind:     global_buffer
      - .offset:         80
        .size:           4
        .value_kind:     by_value
      - .address_space:  global
        .offset:         88
        .size:           8
        .value_kind:     global_buffer
      - .offset:         96
        .size:           4
        .value_kind:     by_value
      - .offset:         100
        .size:           4
        .value_kind:     by_value
      - .offset:         104
        .size:           4
        .value_kind:     by_value
      - .offset:         108
        .size:           1
        .value_kind:     by_value
    .group_segment_fixed_size: 256
    .kernarg_segment_align: 8
    .kernarg_segment_size: 112
    .language:       OpenCL C
    .language_version:
      - 2
      - 0
    .max_flat_workgroup_size: 1024
    .name:           _ZN9rocsparseL12csrsv_kernelILj1024ELj32ELb0Eil21rocsparse_complex_numIfEEEvT3_NS_24const_host_device_scalarIT4_EEPKT2_PKS3_PKS5_SD_lPS5_PiSB_iPS3_21rocsparse_index_base_20rocsparse_fill_mode_20rocsparse_diag_type_b
    .private_segment_fixed_size: 0
    .sgpr_count:     45
    .sgpr_spill_count: 0
    .symbol:         _ZN9rocsparseL12csrsv_kernelILj1024ELj32ELb0Eil21rocsparse_complex_numIfEEEvT3_NS_24const_host_device_scalarIT4_EEPKT2_PKS3_PKS5_SD_lPS5_PiSB_iPS3_21rocsparse_index_base_20rocsparse_fill_mode_20rocsparse_diag_type_b.kd
    .uniform_work_group_size: 1
    .uses_dynamic_stack: false
    .vgpr_count:     18
    .vgpr_spill_count: 0
    .wavefront_size: 64
  - .agpr_count:     0
    .args:
      - .offset:         0
        .size:           8
        .value_kind:     by_value
      - .offset:         8
        .size:           8
        .value_kind:     by_value
      - .actual_access:  read_only
        .address_space:  global
        .offset:         16
        .size:           8
        .value_kind:     global_buffer
      - .actual_access:  read_only
        .address_space:  global
        .offset:         24
        .size:           8
        .value_kind:     global_buffer
      - .actual_access:  read_only
        .address_space:  global
        .offset:         32
        .size:           8
        .value_kind:     global_buffer
      - .actual_access:  read_only
        .address_space:  global
        .offset:         40
        .size:           8
        .value_kind:     global_buffer
      - .offset:         48
        .size:           8
        .value_kind:     by_value
      - .address_space:  global
        .offset:         56
        .size:           8
        .value_kind:     global_buffer
      - .address_space:  global
        .offset:         64
        .size:           8
        .value_kind:     global_buffer
      - .actual_access:  read_only
        .address_space:  global
        .offset:         72
        .size:           8
        .value_kind:     global_buffer
      - .offset:         80
        .size:           4
        .value_kind:     by_value
      - .address_space:  global
        .offset:         88
        .size:           8
        .value_kind:     global_buffer
      - .offset:         96
        .size:           4
        .value_kind:     by_value
      - .offset:         100
        .size:           4
        .value_kind:     by_value
      - .offset:         104
        .size:           4
        .value_kind:     by_value
      - .offset:         108
        .size:           1
        .value_kind:     by_value
    .group_segment_fixed_size: 128
    .kernarg_segment_align: 8
    .kernarg_segment_size: 112
    .language:       OpenCL C
    .language_version:
      - 2
      - 0
    .max_flat_workgroup_size: 1024
    .name:           _ZN9rocsparseL12csrsv_kernelILj1024ELj64ELb0Eil21rocsparse_complex_numIfEEEvT3_NS_24const_host_device_scalarIT4_EEPKT2_PKS3_PKS5_SD_lPS5_PiSB_iPS3_21rocsparse_index_base_20rocsparse_fill_mode_20rocsparse_diag_type_b
    .private_segment_fixed_size: 0
    .sgpr_count:     45
    .sgpr_spill_count: 0
    .symbol:         _ZN9rocsparseL12csrsv_kernelILj1024ELj64ELb0Eil21rocsparse_complex_numIfEEEvT3_NS_24const_host_device_scalarIT4_EEPKT2_PKS3_PKS5_SD_lPS5_PiSB_iPS3_21rocsparse_index_base_20rocsparse_fill_mode_20rocsparse_diag_type_b.kd
    .uniform_work_group_size: 1
    .uses_dynamic_stack: false
    .vgpr_count:     18
    .vgpr_spill_count: 0
    .wavefront_size: 64
  - .agpr_count:     0
    .args:
      - .offset:         0
        .size:           8
        .value_kind:     by_value
      - .offset:         8
        .size:           16
        .value_kind:     by_value
      - .actual_access:  read_only
        .address_space:  global
        .offset:         24
        .size:           8
        .value_kind:     global_buffer
      - .actual_access:  read_only
        .address_space:  global
        .offset:         32
        .size:           8
        .value_kind:     global_buffer
      - .actual_access:  read_only
        .address_space:  global
        .offset:         40
        .size:           8
        .value_kind:     global_buffer
      - .actual_access:  read_only
        .address_space:  global
        .offset:         48
        .size:           8
        .value_kind:     global_buffer
      - .offset:         56
        .size:           8
        .value_kind:     by_value
      - .address_space:  global
        .offset:         64
        .size:           8
        .value_kind:     global_buffer
      - .address_space:  global
        .offset:         72
        .size:           8
        .value_kind:     global_buffer
      - .actual_access:  read_only
        .address_space:  global
        .offset:         80
        .size:           8
        .value_kind:     global_buffer
      - .offset:         88
        .size:           4
        .value_kind:     by_value
      - .address_space:  global
        .offset:         96
        .size:           8
        .value_kind:     global_buffer
      - .offset:         104
        .size:           4
        .value_kind:     by_value
      - .offset:         108
        .size:           4
        .value_kind:     by_value
      - .offset:         112
        .size:           4
        .value_kind:     by_value
      - .offset:         116
        .size:           1
        .value_kind:     by_value
    .group_segment_fixed_size: 8448
    .kernarg_segment_align: 8
    .kernarg_segment_size: 120
    .language:       OpenCL C
    .language_version:
      - 2
      - 0
    .max_flat_workgroup_size: 1024
    .name:           _ZN9rocsparseL12csrsv_kernelILj1024ELj64ELb1Eil21rocsparse_complex_numIdEEEvT3_NS_24const_host_device_scalarIT4_EEPKT2_PKS3_PKS5_SD_lPS5_PiSB_iPS3_21rocsparse_index_base_20rocsparse_fill_mode_20rocsparse_diag_type_b
    .private_segment_fixed_size: 0
    .sgpr_count:     45
    .sgpr_spill_count: 0
    .symbol:         _ZN9rocsparseL12csrsv_kernelILj1024ELj64ELb1Eil21rocsparse_complex_numIdEEEvT3_NS_24const_host_device_scalarIT4_EEPKT2_PKS3_PKS5_SD_lPS5_PiSB_iPS3_21rocsparse_index_base_20rocsparse_fill_mode_20rocsparse_diag_type_b.kd
    .uniform_work_group_size: 1
    .uses_dynamic_stack: false
    .vgpr_count:     28
    .vgpr_spill_count: 0
    .wavefront_size: 64
  - .agpr_count:     0
    .args:
      - .offset:         0
        .size:           8
        .value_kind:     by_value
      - .offset:         8
        .size:           16
        .value_kind:     by_value
      - .actual_access:  read_only
        .address_space:  global
        .offset:         24
        .size:           8
        .value_kind:     global_buffer
      - .actual_access:  read_only
        .address_space:  global
        .offset:         32
        .size:           8
        .value_kind:     global_buffer
      - .actual_access:  read_only
        .address_space:  global
        .offset:         40
        .size:           8
        .value_kind:     global_buffer
      - .actual_access:  read_only
        .address_space:  global
        .offset:         48
        .size:           8
        .value_kind:     global_buffer
      - .offset:         56
        .size:           8
        .value_kind:     by_value
      - .address_space:  global
        .offset:         64
        .size:           8
        .value_kind:     global_buffer
      - .address_space:  global
        .offset:         72
        .size:           8
        .value_kind:     global_buffer
      - .actual_access:  read_only
        .address_space:  global
        .offset:         80
        .size:           8
        .value_kind:     global_buffer
      - .offset:         88
        .size:           4
        .value_kind:     by_value
      - .address_space:  global
        .offset:         96
        .size:           8
        .value_kind:     global_buffer
      - .offset:         104
        .size:           4
        .value_kind:     by_value
      - .offset:         108
        .size:           4
        .value_kind:     by_value
      - .offset:         112
        .size:           4
        .value_kind:     by_value
      - .offset:         116
        .size:           1
        .value_kind:     by_value
    .group_segment_fixed_size: 8704
    .kernarg_segment_align: 8
    .kernarg_segment_size: 120
    .language:       OpenCL C
    .language_version:
      - 2
      - 0
    .max_flat_workgroup_size: 1024
    .name:           _ZN9rocsparseL12csrsv_kernelILj1024ELj32ELb0Eil21rocsparse_complex_numIdEEEvT3_NS_24const_host_device_scalarIT4_EEPKT2_PKS3_PKS5_SD_lPS5_PiSB_iPS3_21rocsparse_index_base_20rocsparse_fill_mode_20rocsparse_diag_type_b
    .private_segment_fixed_size: 0
    .sgpr_count:     45
    .sgpr_spill_count: 0
    .symbol:         _ZN9rocsparseL12csrsv_kernelILj1024ELj32ELb0Eil21rocsparse_complex_numIdEEEvT3_NS_24const_host_device_scalarIT4_EEPKT2_PKS3_PKS5_SD_lPS5_PiSB_iPS3_21rocsparse_index_base_20rocsparse_fill_mode_20rocsparse_diag_type_b.kd
    .uniform_work_group_size: 1
    .uses_dynamic_stack: false
    .vgpr_count:     28
    .vgpr_spill_count: 0
    .wavefront_size: 64
  - .agpr_count:     0
    .args:
      - .offset:         0
        .size:           8
        .value_kind:     by_value
      - .offset:         8
        .size:           16
        .value_kind:     by_value
      - .actual_access:  read_only
        .address_space:  global
        .offset:         24
        .size:           8
        .value_kind:     global_buffer
      - .actual_access:  read_only
        .address_space:  global
        .offset:         32
        .size:           8
        .value_kind:     global_buffer
      - .actual_access:  read_only
        .address_space:  global
        .offset:         40
        .size:           8
        .value_kind:     global_buffer
      - .actual_access:  read_only
        .address_space:  global
        .offset:         48
        .size:           8
        .value_kind:     global_buffer
      - .offset:         56
        .size:           8
        .value_kind:     by_value
      - .address_space:  global
        .offset:         64
        .size:           8
        .value_kind:     global_buffer
      - .address_space:  global
        .offset:         72
        .size:           8
        .value_kind:     global_buffer
      - .actual_access:  read_only
        .address_space:  global
        .offset:         80
        .size:           8
        .value_kind:     global_buffer
      - .offset:         88
        .size:           4
        .value_kind:     by_value
      - .address_space:  global
        .offset:         96
        .size:           8
        .value_kind:     global_buffer
      - .offset:         104
        .size:           4
        .value_kind:     by_value
      - .offset:         108
        .size:           4
        .value_kind:     by_value
      - .offset:         112
        .size:           4
        .value_kind:     by_value
      - .offset:         116
        .size:           1
        .value_kind:     by_value
    .group_segment_fixed_size: 8448
    .kernarg_segment_align: 8
    .kernarg_segment_size: 120
    .language:       OpenCL C
    .language_version:
      - 2
      - 0
    .max_flat_workgroup_size: 1024
    .name:           _ZN9rocsparseL12csrsv_kernelILj1024ELj64ELb0Eil21rocsparse_complex_numIdEEEvT3_NS_24const_host_device_scalarIT4_EEPKT2_PKS3_PKS5_SD_lPS5_PiSB_iPS3_21rocsparse_index_base_20rocsparse_fill_mode_20rocsparse_diag_type_b
    .private_segment_fixed_size: 0
    .sgpr_count:     45
    .sgpr_spill_count: 0
    .symbol:         _ZN9rocsparseL12csrsv_kernelILj1024ELj64ELb0Eil21rocsparse_complex_numIdEEEvT3_NS_24const_host_device_scalarIT4_EEPKT2_PKS3_PKS5_SD_lPS5_PiSB_iPS3_21rocsparse_index_base_20rocsparse_fill_mode_20rocsparse_diag_type_b.kd
    .uniform_work_group_size: 1
    .uses_dynamic_stack: false
    .vgpr_count:     28
    .vgpr_spill_count: 0
    .wavefront_size: 64
amdhsa.target:   amdgcn-amd-amdhsa--gfx90a
amdhsa.version:
  - 1
  - 2
...

	.end_amdgpu_metadata
